;; amdgpu-corpus repo=ROCm/aiter kind=harvested arch=n/a opt=n/a

/root/src/amdgpu-assembly/repos/ROCm__aiter/hsa/gfx950/fmoe_2stages/fmoe_stage1_bf16_pertokenFp8_g1u1_48x128_2tg_pf2.co:	file format elf64-amdgpu

Disassembly of section .text:

0000000000002a00 <_ZN5aiter48fmoe_stage1_bf16_pertokenFp8_g1u1_48x128_2tg_pf2E>:
	s_and_b32 s1, s1, 0xffff                                   // 000000002A00: 8601FF01 0000FFFF
	s_load_dwordx2 s[8:9], s[0:1], 0x0                         // 000000002A08: C0060200 00000000
	s_load_dwordx2 s[20:21], s[0:1], 0x10                      // 000000002A10: C0060500 00000010
	s_load_dwordx2 s[24:25], s[0:1], 0x20                      // 000000002A18: C0060600 00000020
	s_load_dwordx2 s[48:49], s[0:1], 0x30                      // 000000002A20: C0060C00 00000030
	s_load_dwordx2 s[28:29], s[0:1], 0x40                      // 000000002A28: C0060700 00000040
	s_load_dwordx2 s[32:33], s[0:1], 0x50                      // 000000002A30: C0060800 00000050
	s_load_dwordx2 s[36:37], s[0:1], 0x60                      // 000000002A38: C0060900 00000060
	s_load_dwordx2 s[12:13], s[0:1], 0x70                      // 000000002A40: C0060300 00000070
	s_load_dwordx2 s[44:45], s[0:1], 0x80                      // 000000002A48: C0060B00 00000080
	s_mov_b32 s89, 0                                           // 000000002A50: BED90080
	s_load_dword s64, s[0:1], 0x90                             // 000000002A54: C0021000 00000090
	s_load_dword s65, s[0:1], 0xa0                             // 000000002A5C: C0021040 000000A0
	s_load_dword s66, s[0:1], 0xb0                             // 000000002A64: C0021080 000000B0
	s_load_dword s67, s[0:1], 0xc0                             // 000000002A6C: C00210C0 000000C0
	s_load_dword s68, s[0:1], 0xd0                             // 000000002A74: C0021100 000000D0
	s_load_dword s69, s[0:1], 0xe0                             // 000000002A7C: C0021140 000000E0
	s_load_dword s71, s[0:1], 0xf0                             // 000000002A84: C00211C0 000000F0
	s_load_dword s72, s[0:1], 0x100                            // 000000002A8C: C0021200 00000100
	s_load_dword s74, s[0:1], 0x110                            // 000000002A94: C0021280 00000110
	s_load_dword s76, s[0:1], 0x120                            // 000000002A9C: C0021300 00000120
	s_load_dword s56, s[0:1], 0x130                            // 000000002AA4: C0020E00 00000130
	s_load_dword s88, s[0:1], 0x140                            // 000000002AAC: C0021600 00000140
	s_load_dword s89, s[0:1], 0x150                            // 000000002AB4: C0021640 00000150
	v_lshrrev_b32_e32 v1, 10, v0                               // 000000002ABC: 2002008A
	v_lshrrev_b32_e32 v2, 10, v1                               // 000000002AC0: 2004028A
	v_and_b32_e32 v2, 0x3ff, v2                                // 000000002AC4: 260404FF 000003FF
	v_and_b32_e32 v1, 0x3ff, v1                                // 000000002ACC: 260202FF 000003FF
	v_and_b32_e32 v0, 0x3ff, v0                                // 000000002AD4: 260000FF 000003FF
	v_lshrrev_b32_e32 v3, 6, v0                                // 000000002ADC: 20060086
	v_and_b32_e32 v0, 63, v0                                   // 000000002AE0: 260000BF
	s_mov_b32 s2, s2                                           // 000000002AE4: BE820002
	s_mov_b32 s3, s3                                           // 000000002AE8: BE830003
	s_mov_b32 s4, s4                                           // 000000002AEC: BE840004
	v_readfirstlane_b32 s7, v3                                 // 000000002AF0: 7E0E0503
	s_waitcnt lgkmcnt(0)                                       // 000000002AF4: BF8CC07F
	s_and_b32 s49, s49, 0xffff                                 // 000000002AF8: 8631FF31 0000FFFF
	s_load_dword s48, s[48:49], 0x0                            // 000000002B00: C0020C18 00000000
	s_and_b32 s45, s45, 0xffff                                 // 000000002B08: 862DFF2D 0000FFFF
	s_and_b32 s9, s9, 0xffff                                   // 000000002B10: 8609FF09 0000FFFF
	s_mul_i32 s60, s66, s68                                    // 000000002B18: 923C4442
	s_mul_i32 s61, s66, 4                                      // 000000002B1C: 923D8442
	s_mov_b32 s22, s60                                         // 000000002B20: BE96003C
	s_mov_b32 s26, -16                                         // 000000002B24: BE9A00D0
	s_mov_b32 s30, s61                                         // 000000002B28: BE9E003D
	s_mov_b32 s14, 0xc0                                        // 000000002B2C: BE8E00FF 000000C0
	s_mov_b32 s38, -16                                         // 000000002B34: BEA600D0
	s_mov_b32 s10, -16                                         // 000000002B38: BE8A00D0
	s_mov_b32 s34, 0x200                                       // 000000002B3C: BEA200FF 00000200
	s_mov_b32 s23, 0x20000                                     // 000000002B44: BE9700FF 00020000
	s_mov_b32 s27, 0x20000                                     // 000000002B4C: BE9B00FF 00020000
	s_mov_b32 s31, 0x20000                                     // 000000002B54: BE9F00FF 00020000
	s_mov_b32 s35, 0x20000                                     // 000000002B5C: BEA300FF 00020000
	s_mov_b32 s15, 0x20000                                     // 000000002B64: BE8F00FF 00020000
	s_mov_b32 s39, 0x20000                                     // 000000002B6C: BEA700FF 00020000
	s_mov_b32 s11, 0x20000                                     // 000000002B74: BE8B00FF 00020000
	s_and_b32 s21, s21, 0xffff                                 // 000000002B7C: 8615FF15 0000FFFF
	s_and_b32 s25, s25, 0xffff                                 // 000000002B84: 8619FF19 0000FFFF
	s_and_b32 s29, s29, 0xffff                                 // 000000002B8C: 861DFF1D 0000FFFF
	s_and_b32 s33, s33, 0xffff                                 // 000000002B94: 8621FF21 0000FFFF
	s_and_b32 s13, s13, 0xffff                                 // 000000002B9C: 860DFF0D 0000FFFF
	s_and_b32 s37, s37, 0xffff                                 // 000000002BA4: 8625FF25 0000FFFF
	s_or_b32 s21, s21, 0x40000                                 // 000000002BAC: 8715FF15 00040000
	s_or_b32 s25, s25, 0x40000                                 // 000000002BB4: 8719FF19 00040000
	s_or_b32 s29, s29, 0x40000                                 // 000000002BBC: 871DFF1D 00040000
	s_or_b32 s33, s33, 0x40000                                 // 000000002BC4: 8721FF21 00040000
	s_or_b32 s13, s13, 0x40000                                 // 000000002BCC: 870DFF0D 00040000
	s_or_b32 s37, s37, 0x40000                                 // 000000002BD4: 8725FF25 00040000
	v_accvgpr_write_b32 a79, 0                                 // 000000002BDC: D3D9404F 18000080
	v_mov_b32_e32 v95, 0                                       // 000000002BE4: 7EBE0280
	s_waitcnt lgkmcnt(0)                                       // 000000002BE8: BF8CC07F
	s_mul_i32 s60, s3, 48                                      // 000000002BEC: 923CB003
	s_cmp_lt_i32 s60, s48                                      // 000000002BF0: BF04303C
	s_cbranch_scc0 label_1364                                  // 000000002BF4: BF8412E3
	s_mov_b32 s80, 0                                           // 000000002BF8: BED00080
	s_lshr_b32 s81, s64, s88                                   // 000000002BFC: 8F515840
	s_mul_i32 s60, s3, 4                                       // 000000002C00: 923C8403
	s_add_u32 s44, s60, s44                                    // 000000002C04: 802C2C3C
	s_addc_u32 s45, 0, s45                                     // 000000002C08: 822D2D80
	s_load_dword s5, s[44:45], 0x0                             // 000000002C0C: C0020156 00000000
	s_mul_i32 s60, s3, 48                                      // 000000002C14: 923CB003
	s_mul_i32 s60, 4, s60                                      // 000000002C18: 923C3C84
	s_add_u32 s12, s60, s12                                    // 000000002C1C: 800C0C3C
	s_addc_u32 s13, 0, s13                                     // 000000002C20: 820D0D80
	v_and_b32_e32 v4, 15, v0                                   // 000000002C24: 2608008F
	v_lshlrev_b32_e32 v4, 2, v4                                // 000000002C28: 24080882
	buffer_load_dword v28, v4, s[12:15], 0 offen               // 000000002C2C: E0501000 80031C04
	v_add_u32_e32 v4, 64, v4                                   // 000000002C34: 680808C0
	buffer_load_dword v29, v4, s[12:15], 0 offen               // 000000002C38: E0501000 80031D04
	v_add_u32_e32 v4, 64, v4                                   // 000000002C40: 680808C0
	buffer_load_dword v30, v4, s[12:15], 0 offen               // 000000002C44: E0501000 80031E04
	v_add_u32_e32 v4, 64, v4                                   // 000000002C4C: 680808C0
	s_mul_i32 s60, 4, s7                                       // 000000002C50: 923C0784
	v_lshlrev_b32_e32 v4, 4, v0                                // 000000002C54: 24080084
	v_add_u32_e32 v4, s60, v4                                  // 000000002C58: 6808083C
	buffer_load_dword v3, v4, s[12:15], 0 offen                // 000000002C5C: E0501000 80030304
	v_mov_b32_e32 v48, 0                                       // 000000002C64: 7E600280
	v_mov_b32_e32 v72, 0                                       // 000000002C68: 7E900280
	v_mov_b32_e32 v49, 0                                       // 000000002C6C: 7E620280
	v_mov_b32_e32 v73, 0                                       // 000000002C70: 7E920280
	v_mov_b32_e32 v50, 0                                       // 000000002C74: 7E640280
	v_mov_b32_e32 v74, 0                                       // 000000002C78: 7E940280
	v_mov_b32_e32 v51, 0                                       // 000000002C7C: 7E660280
	v_mov_b32_e32 v75, 0                                       // 000000002C80: 7E960280
	v_mov_b32_e32 v52, 0                                       // 000000002C84: 7E680280
	v_mov_b32_e32 v76, 0                                       // 000000002C88: 7E980280
	v_mov_b32_e32 v53, 0                                       // 000000002C8C: 7E6A0280
	v_mov_b32_e32 v77, 0                                       // 000000002C90: 7E9A0280
	v_mov_b32_e32 v54, 0                                       // 000000002C94: 7E6C0280
	v_mov_b32_e32 v78, 0                                       // 000000002C98: 7E9C0280
	v_mov_b32_e32 v55, 0                                       // 000000002C9C: 7E6E0280
	v_mov_b32_e32 v79, 0                                       // 000000002CA0: 7E9E0280
	v_mov_b32_e32 v56, 0                                       // 000000002CA4: 7E700280
	v_mov_b32_e32 v80, 0                                       // 000000002CA8: 7EA00280
	v_mov_b32_e32 v57, 0                                       // 000000002CAC: 7E720280
	v_mov_b32_e32 v81, 0                                       // 000000002CB0: 7EA20280
	v_mov_b32_e32 v58, 0                                       // 000000002CB4: 7E740280
	v_mov_b32_e32 v82, 0                                       // 000000002CB8: 7EA40280
	v_mov_b32_e32 v59, 0                                       // 000000002CBC: 7E760280
	v_mov_b32_e32 v83, 0                                       // 000000002CC0: 7EA60280
	v_mov_b32_e32 v60, 0                                       // 000000002CC4: 7E780280
	v_mov_b32_e32 v84, 0                                       // 000000002CC8: 7EA80280
	v_mov_b32_e32 v61, 0                                       // 000000002CCC: 7E7A0280
	v_mov_b32_e32 v85, 0                                       // 000000002CD0: 7EAA0280
	v_mov_b32_e32 v62, 0                                       // 000000002CD4: 7E7C0280
	v_mov_b32_e32 v86, 0                                       // 000000002CD8: 7EAC0280
	v_mov_b32_e32 v63, 0                                       // 000000002CDC: 7E7E0280
	v_mov_b32_e32 v87, 0                                       // 000000002CE0: 7EAE0280
	v_mov_b32_e32 v64, 0                                       // 000000002CE4: 7E800280
	v_mov_b32_e32 v88, 0                                       // 000000002CE8: 7EB00280
	v_mov_b32_e32 v65, 0                                       // 000000002CEC: 7E820280
	v_mov_b32_e32 v89, 0                                       // 000000002CF0: 7EB20280
	v_mov_b32_e32 v66, 0                                       // 000000002CF4: 7E840280
	v_mov_b32_e32 v90, 0                                       // 000000002CF8: 7EB40280
	v_mov_b32_e32 v67, 0                                       // 000000002CFC: 7E860280
	v_mov_b32_e32 v91, 0                                       // 000000002D00: 7EB60280
	v_mov_b32_e32 v68, 0                                       // 000000002D04: 7E880280
	v_mov_b32_e32 v92, 0                                       // 000000002D08: 7EB80280
	v_mov_b32_e32 v69, 0                                       // 000000002D0C: 7E8A0280
	v_mov_b32_e32 v93, 0                                       // 000000002D10: 7EBA0280
	v_mov_b32_e32 v70, 0                                       // 000000002D14: 7E8C0280
	v_mov_b32_e32 v94, 0                                       // 000000002D18: 7EBC0280
	v_mov_b32_e32 v71, 0                                       // 000000002D1C: 7E8E0280
	v_mov_b32_e32 v95, 0                                       // 000000002D20: 7EBE0280
	s_mul_i32 s60, s2, 0x100                                   // 000000002D24: 923CFF02 00000100
	s_cmp_eq_u32 s88, 0                                        // 000000002D2C: BF068058
	s_cselect_b32 s61, 1, 2                                    // 000000002D30: 853D8281
	s_mul_i32 s60, s60, s61                                    // 000000002D34: 923C3D3C
	s_mov_b32 s90, s8                                          // 000000002D38: BEDA0008
	s_mov_b32 s91, s9                                          // 000000002D3C: BEDB0009
	s_add_u32 s8, s60, s8                                      // 000000002D40: 8008083C
	s_addc_u32 s9, 0, s9                                       // 000000002D44: 82090980
	v_lshrrev_b32_e32 v4, 4, v0                                // 000000002D48: 20080084
	v_mul_lo_u32 v20, 34, v4                                   // 000000002D4C: D2850014 000208A2
	v_and_b32_e32 v4, 15, v0                                   // 000000002D54: 2608008F
	v_mul_lo_u32 v5, 2, v4                                     // 000000002D58: D2850005 00020882
	v_add_u32_e32 v20, v5, v20                                 // 000000002D60: 68282905
	s_mul_i32 s60, s7, 0x88                                    // 000000002D64: 923CFF07 00000088
	v_add_u32_e32 v20, s60, v20                                // 000000002D6C: 6828283C
	v_lshlrev_b32_e32 v20, 2, v20                              // 000000002D70: 24282882
	v_and_b32_e32 v4, 31, v0                                   // 000000002D74: 2608009F
	v_lshrrev_b32_e32 v4, 1, v4                                // 000000002D78: 20080881
	v_mul_lo_u32 v21, 34, v4                                   // 000000002D7C: D2850015 000208A2
	v_lshrrev_b32_e32 v4, 5, v0                                // 000000002D84: 20080085
	v_mul_lo_u32 v4, 8, v4                                     // 000000002D88: D2850004 00020888
	v_add_u32_e32 v21, v21, v4                                 // 000000002D90: 682A0915
	v_and_b32_e32 v5, 1, v0                                    // 000000002D94: 260A0081
	v_add_u32_e32 v21, v5, v21                                 // 000000002D98: 682A2B05
	s_mul_i32 s60, s7, 2                                       // 000000002D9C: 923C8207
	v_add_u32_e32 v21, s60, v21                                // 000000002DA0: 682A2A3C
	v_lshlrev_b32_e32 v21, 2, v21                              // 000000002DA4: 242A2A82
	s_mul_i32 s60, s7, 0x620                                   // 000000002DA8: 923CFF07 00000620
	s_add_u32 s48, 0, s60                                      // 000000002DB0: 80303C80
	s_add_u32 s49, 0x1880, s48                                 // 000000002DB4: 803130FF 00001880
	v_lshrrev_b32_e32 v4, 4, v0                                // 000000002DBC: 20080084
	v_lshlrev_b32_e32 v5, 2, v4                                // 000000002DC0: 240A0882
	v_and_b32_e32 v4, 15, v0                                   // 000000002DC4: 2608008F
	v_lshrrev_b32_e32 v6, 2, v4                                // 000000002DC8: 200C0882
	v_lshlrev_b32_e32 v6, 5, v6                                // 000000002DCC: 240C0C85
	v_add_u32_e32 v5, v6, v5                                   // 000000002DD0: 680A0B06
	v_and_b32_e32 v4, 3, v0                                    // 000000002DD4: 26080083
	v_mul_u32_u24_e32 v6, 0x188, v4                            // 000000002DD8: 100C08FF 00000188
	v_add_u32_e32 v5, v6, v5                                   // 000000002DE0: 680A0B06
	v_lshlrev_b32_e32 v2, 2, v5                                // 000000002DE4: 24040A82
	s_waitcnt lgkmcnt(0)                                       // 000000002DE8: BF8CC07F
	s_mul_i32 s60, s2, 0x80                                    // 000000002DEC: 923CFF02 00000080
	s_mul_i32 s60, s60, s69                                    // 000000002DF4: 923C453C
	s_mul_i32 s61, s5, s72                                     // 000000002DF8: 923D4805
	s_add_u32 s60, s61, s60                                    // 000000002DFC: 803C3C3D
	s_add_u32 s24, s60, s24                                    // 000000002E00: 8018183C
	s_addc_u32 s25, 0, s25                                     // 000000002E04: 82191980
	s_lshr_b32 s60, s64, s88                                   // 000000002E08: 8F3C5840
	s_mul_i32 s60, s4, s60                                     // 000000002E0C: 923C3C04
	s_lshr_b32 s60, s60, 7                                     // 000000002E10: 8F3C873C
	s_mul_i32 s60, s60, 0x800                                  // 000000002E14: 923CFF3C 00000800
	s_add_u32 s24, s60, s24                                    // 000000002E1C: 8018183C
	s_addc_u32 s25, 0, s25                                     // 000000002E20: 82191980
	s_lshr_b32 s60, s69, s88                                   // 000000002E24: 8F3C5845
	s_mul_i32 s60, s4, s60                                     // 000000002E28: 923C3C04
	s_add_u32 s20, s60, s20                                    // 000000002E2C: 8014143C
	s_addc_u32 s21, 0, s21                                     // 000000002E30: 82151580
	s_mul_i32 s60, s7, 16                                      // 000000002E34: 923C9007
	s_mul_i32 s60, s60, s69                                    // 000000002E38: 923C453C
	v_lshlrev_b32_e32 v46, 4, v0                               // 000000002E3C: 245C0084
	v_add_u32_e32 v46, s60, v46                                // 000000002E40: 685C5C3C
	s_mul_i32 s60, 64, s69                                     // 000000002E44: 923C45C0
	v_add_u32_e32 v47, s60, v46                                // 000000002E48: 685E5C3C
	s_mov_b32 s84, s24                                         // 000000002E4C: BED40018
	s_mov_b32 s85, s25                                         // 000000002E50: BED50019
	s_mov_b32 s86, s26                                         // 000000002E54: BED6001A
	s_mov_b32 s87, s27                                         // 000000002E58: BED7001B
	s_mul_i32 s60, s69, s65                                    // 000000002E5C: 923C4145
	s_add_u32 s84, s60, s84                                    // 000000002E60: 8054543C
	s_addc_u32 s85, 0, s85                                     // 000000002E64: 82555580
	v_lshrrev_b32_e32 v4, 4, v0                                // 000000002E68: 20080084
	v_lshlrev_b32_e32 v5, 2, v4                                // 000000002E6C: 240A0882
	v_and_b32_e32 v4, 15, v0                                   // 000000002E70: 2608008F
	v_lshrrev_b32_e32 v6, 2, v4                                // 000000002E74: 200C0882
	v_lshlrev_b32_e32 v6, 6, v6                                // 000000002E78: 240C0C86
	v_add_u32_e32 v5, v6, v5                                   // 000000002E7C: 680A0B06
	v_and_b32_e32 v4, 3, v0                                    // 000000002E80: 26080083
	v_add_u32_e32 v5, v4, v5                                   // 000000002E84: 680A0B04
	v_lshlrev_b32_e32 v22, 2, v5                               // 000000002E88: 242C0A82
	s_mul_i32 s60, s7, 16                                      // 000000002E8C: 923C9007
	s_mul_i32 s60, s60, 4                                      // 000000002E90: 923C843C
	v_add_u32_e32 v22, s60, v22                                // 000000002E94: 682C2C3C
	s_mul_i32 s60, s2, 0x80                                    // 000000002E98: 923CFF02 00000080
	s_mul_i32 s60, s60, 4                                      // 000000002EA0: 923C843C
	s_mul_i32 s61, s5, s74                                     // 000000002EA4: 923D4A05
	s_add_u32 s61, s61, s60                                    // 000000002EA8: 803D3C3D
	s_add_u32 s32, s61, s32                                    // 000000002EAC: 8020203D
	s_addc_u32 s33, 0, s33                                     // 000000002EB0: 82212180
	s_mov_b32 s57, 0x80                                        // 000000002EB4: BEB900FF 00000080
	s_mov_b32 s58, 0x800                                       // 000000002EBC: BEBA00FF 00000800
	s_mov_b32 s83, s58                                         // 000000002EC4: BED3003A
	s_mov_b32 s52, 0x7060302                                   // 000000002EC8: BEB400FF 07060302
	s_mov_b32 s53, 0x400                                       // 000000002ED0: BEB500FF 00000400
	s_mov_b32 s54, 0x40100                                     // 000000002ED8: BEB600FF 00040100
	s_mov_b32 s55, 0x4020100                                   // 000000002EE0: BEB700FF 04020100
	s_mov_b32 s6, 0x3fb8aa3b                                   // 000000002EE8: BE8600FF 3FB8AA3B
	s_mov_b32 s78, 0xbd92220c                                  // 000000002EF0: BECE00FF BD92220C
	s_mov_b32 s79, 0xbd92220c                                  // 000000002EF8: BECF00FF BD92220C
	s_mov_b32 m0, s48                                          // 000000002F00: BEFC0030
	v_mov_b32_e32 v1, 0xbfcc4231                               // 000000002F04: 7E0202FF BFCC4231
	v_mov_b32_e32 v17, 0xffff0000                              // 000000002F0C: 7E2202FF FFFF0000
	v_mov_b32_e32 v18, 0x7fff0000                              // 000000002F14: 7E2402FF 7FFF0000
	v_mov_b32_e32 v19, 0x7fff                                  // 000000002F1C: 7E2602FF 00007FFF
	s_waitcnt vmcnt(0) expcnt(0) lgkmcnt(0)                    // 000000002F24: BF8C0000
	v_lshrrev_b32_e32 v4, 5, v0                                // 000000002F28: 20080085
	v_xor_b32_e32 v5, 1, v4                                    // 000000002F2C: 2A0A0881
	v_readlane_b32 s82, v3, 0                                  // 000000002F30: D2890052 00010103
	s_and_b32 s82, s82, 0xffffff                               // 000000002F38: 8652FF52 00FFFFFF
	v_mul_lo_u32 v6, v5, s82                                   // 000000002F40: D2850006 0000A505
	v_readlane_b32 s82, v3, 1                                  // 000000002F48: D2890052 00010303
	s_and_b32 s82, s82, 0xffffff                               // 000000002F50: 8652FF52 00FFFFFF
	v_mul_lo_u32 v7, v4, s82                                   // 000000002F58: D2850007 0000A504
	v_add_u32_e32 v40, v6, v7                                  // 000000002F60: 68500F06
	v_mul_lo_u32 v40, v40, s68                                 // 000000002F64: D2850028 00008928
	v_readlane_b32 s82, v3, 2                                  // 000000002F6C: D2890052 00010503
	s_and_b32 s82, s82, 0xffffff                               // 000000002F74: 8652FF52 00FFFFFF
	v_mul_lo_u32 v6, v5, s82                                   // 000000002F7C: D2850006 0000A505
	v_readlane_b32 s82, v3, 3                                  // 000000002F84: D2890052 00010703
	s_and_b32 s82, s82, 0xffffff                               // 000000002F8C: 8652FF52 00FFFFFF
	v_mul_lo_u32 v7, v4, s82                                   // 000000002F94: D2850007 0000A504
	v_add_u32_e32 v41, v6, v7                                  // 000000002F9C: 68520F06
	v_mul_lo_u32 v41, v41, s68                                 // 000000002FA0: D2850029 00008929
	v_readlane_b32 s82, v3, 4                                  // 000000002FA8: D2890052 00010903
	s_and_b32 s82, s82, 0xffffff                               // 000000002FB0: 8652FF52 00FFFFFF
	v_mul_lo_u32 v6, v5, s82                                   // 000000002FB8: D2850006 0000A505
	v_readlane_b32 s82, v3, 5                                  // 000000002FC0: D2890052 00010B03
	s_and_b32 s82, s82, 0xffffff                               // 000000002FC8: 8652FF52 00FFFFFF
	v_mul_lo_u32 v7, v4, s82                                   // 000000002FD0: D2850007 0000A504
	v_add_u32_e32 v42, v6, v7                                  // 000000002FD8: 68540F06
	v_mul_lo_u32 v42, v42, s68                                 // 000000002FDC: D285002A 0000892A
	v_readlane_b32 s82, v3, 6                                  // 000000002FE4: D2890052 00010D03
	s_and_b32 s82, s82, 0xffffff                               // 000000002FEC: 8652FF52 00FFFFFF
	v_mul_lo_u32 v6, v5, s82                                   // 000000002FF4: D2850006 0000A505
	v_readlane_b32 s82, v3, 7                                  // 000000002FFC: D2890052 00010F03
	s_and_b32 s82, s82, 0xffffff                               // 000000003004: 8652FF52 00FFFFFF
	v_mul_lo_u32 v7, v4, s82                                   // 00000000300C: D2850007 0000A504
	v_add_u32_e32 v43, v6, v7                                  // 000000003014: 68560F06
	v_mul_lo_u32 v43, v43, s68                                 // 000000003018: D285002B 0000892B
	v_readlane_b32 s82, v3, 8                                  // 000000003020: D2890052 00011103
	s_and_b32 s82, s82, 0xffffff                               // 000000003028: 8652FF52 00FFFFFF
	v_mul_lo_u32 v6, v5, s82                                   // 000000003030: D2850006 0000A505
	v_readlane_b32 s82, v3, 9                                  // 000000003038: D2890052 00011303
	s_and_b32 s82, s82, 0xffffff                               // 000000003040: 8652FF52 00FFFFFF
	v_mul_lo_u32 v7, v4, s82                                   // 000000003048: D2850007 0000A504
	v_add_u32_e32 v44, v6, v7                                  // 000000003050: 68580F06
	v_mul_lo_u32 v44, v44, s68                                 // 000000003054: D285002C 0000892C
	v_readlane_b32 s82, v3, 10                                 // 00000000305C: D2890052 00011503
	s_and_b32 s82, s82, 0xffffff                               // 000000003064: 8652FF52 00FFFFFF
	v_mul_lo_u32 v6, v5, s82                                   // 00000000306C: D2850006 0000A505
	v_readlane_b32 s82, v3, 11                                 // 000000003074: D2890052 00011703
	s_and_b32 s82, s82, 0xffffff                               // 00000000307C: 8652FF52 00FFFFFF
	v_mul_lo_u32 v7, v4, s82                                   // 000000003084: D2850007 0000A504
	v_add_u32_e32 v45, v6, v7                                  // 00000000308C: 685A0F06
	v_mul_lo_u32 v45, v45, s68                                 // 000000003090: D285002D 0000892D
	v_and_b32_e32 v4, 31, v0                                   // 000000003098: 2608009F
	v_lshlrev_b32_e32 v4, 2, v4                                // 00000000309C: 24080882
	v_add_u32_e32 v40, v40, v4                                 // 0000000030A0: 68500928
	v_add_u32_e32 v41, v41, v4                                 // 0000000030A4: 68520929
	v_add_u32_e32 v42, v42, v4                                 // 0000000030A8: 6854092A
	v_add_u32_e32 v43, v43, v4                                 // 0000000030AC: 6856092B
	v_add_u32_e32 v44, v44, v4                                 // 0000000030B0: 6858092C
	v_add_u32_e32 v45, v45, v4                                 // 0000000030B4: 685A092D
	v_and_b32_e32 v28, 0xffffff, v28                           // 0000000030B8: 263838FF 00FFFFFF
	v_lshlrev_b32_e32 v28, 2, v28                              // 0000000030C0: 24383882
	v_and_b32_e32 v29, 0xffffff, v29                           // 0000000030C4: 263A3AFF 00FFFFFF
	v_lshlrev_b32_e32 v29, 2, v29                              // 0000000030CC: 243A3A82
	v_and_b32_e32 v30, 0xffffff, v30                           // 0000000030D0: 263C3CFF 00FFFFFF
	v_lshlrev_b32_e32 v30, 2, v30                              // 0000000030D8: 243C3C82
	s_lshl_b32 s3, s66, 2                                      // 0000000030DC: 8E038242
	buffer_load_dword v31, v28, s[28:31], 0 offen              // 0000000030E0: E0501000 80071F1C
	buffer_load_dword v32, v29, s[28:31], 0 offen              // 0000000030E8: E0501000 8007201D
	buffer_load_dword v33, v30, s[28:31], 0 offen              // 0000000030F0: E0501000 8007211E
	buffer_load_dword v24, v22, s[32:35], 0 offen              // 0000000030F8: E0501000 80081816
	s_mul_i32 s60, 4, s65                                      // 000000003100: 923C4184
	s_add_u32 s32, s60, s32                                    // 000000003104: 8020203C
	s_addc_u32 s33, 0, s33                                     // 000000003108: 82212180
	buffer_load_dword v26, v22, s[32:35], 0 offen              // 00000000310C: E0501000 80081A16
	buffer_load_dword v40, s[20:23], 0 offen lds               // 000000003114: E0511000 80050028
	s_add_u32 m0, 0x100, s48                                   // 00000000311C: 807C30FF 00000100
	buffer_load_dword v41, s[20:23], 0 offen lds               // 000000003124: E0511000 80050029
	s_add_u32 m0, 0x200, s48                                   // 00000000312C: 807C30FF 00000200
	buffer_load_dword v42, s[20:23], 0 offen lds               // 000000003134: E0511000 8005002A
	s_add_u32 m0, 0x300, s48                                   // 00000000313C: 807C30FF 00000300
	buffer_load_dword v43, s[20:23], 0 offen lds               // 000000003144: E0511000 8005002B
	s_add_u32 m0, 0x400, s48                                   // 00000000314C: 807C30FF 00000400
	buffer_load_dword v44, s[20:23], 0 offen lds               // 000000003154: E0511000 8005002C
	s_add_u32 m0, 0x500, s48                                   // 00000000315C: 807C30FF 00000500
	buffer_load_dword v45, s[20:23], 0 offen lds               // 000000003164: E0511000 8005002D
	s_add_u32 m0, 0, s49                                       // 00000000316C: 807C3180
	s_add_u32 s20, s57, s20                                    // 000000003170: 80141439
	s_addc_u32 s21, 0, s21                                     // 000000003174: 82151580
	buffer_load_dword v40, s[20:23], 0 offen lds               // 000000003178: E0511000 80050028
	s_add_u32 m0, 0x100, s49                                   // 000000003180: 807C31FF 00000100
	buffer_load_dword v41, s[20:23], 0 offen lds               // 000000003188: E0511000 80050029
	s_add_u32 m0, 0x200, s49                                   // 000000003190: 807C31FF 00000200
	buffer_load_dword v42, s[20:23], 0 offen lds               // 000000003198: E0511000 8005002A
	s_add_u32 m0, 0x300, s49                                   // 0000000031A0: 807C31FF 00000300
	buffer_load_dword v43, s[20:23], 0 offen lds               // 0000000031A8: E0511000 8005002B
	s_add_u32 m0, 0x400, s49                                   // 0000000031B0: 807C31FF 00000400
	buffer_load_dword v44, s[20:23], 0 offen lds               // 0000000031B8: E0511000 8005002C
	s_add_u32 m0, 0x500, s49                                   // 0000000031C0: 807C31FF 00000500
	buffer_load_dword v45, s[20:23], 0 offen lds               // 0000000031C8: E0511000 8005002D
	s_add_u32 m0, 0, s48                                       // 0000000031D0: 807C3080
	s_add_u32 s20, s57, s20                                    // 0000000031D4: 80141439
	s_addc_u32 s21, 0, s21                                     // 0000000031D8: 82151580
	buffer_load_dwordx4 a[48:51], v46, s[24:27], 0 offen       // 0000000031DC: E05C1000 8086302E
	buffer_load_dwordx4 a[52:55], v46, s[24:27], 0 offen offset:1024// 0000000031E4: E05C1400 8086342E
	buffer_load_dwordx4 a[56:59], v47, s[24:27], 0 offen       // 0000000031EC: E05C1000 8086382F
	buffer_load_dwordx4 a[60:63], v47, s[24:27], 0 offen offset:1024// 0000000031F4: E05C1400 80863C2F
	s_add_u32 s24, s58, s24                                    // 0000000031FC: 8018183A
	s_addc_u32 s25, 0, s25                                     // 000000003200: 82191980
	s_waitcnt vmcnt(10)                                        // 000000003204: BF8C0F7A
	s_barrier                                                  // 000000003208: BF8A0000
	ds_read_b128 a[0:3], v2                                    // 00000000320C: DBFE0000 00000002
	ds_read_b128 a[4:7], v2 offset:64                          // 000000003214: DBFE0040 04000002
	ds_read_b128 a[8:11], v2 offset:512                        // 00000000321C: DBFE0200 08000002
	ds_read_b128 a[12:15], v2 offset:576                       // 000000003224: DBFE0240 0C000002
	ds_read_b128 a[16:19], v2 offset:1024                      // 00000000322C: DBFE0400 10000002
	ds_read_b128 a[20:23], v2 offset:1088                      // 000000003234: DBFE0440 14000002
	s_cmp_lt_i32 s7, 2                                         // 00000000323C: BF048207
	s_cbranch_scc0 label_0ABC                                  // 000000003240: BF8408A8

0000000000003244 <label_0211>:
	s_waitcnt vmcnt(2) lgkmcnt(0)                              // 000000003244: BF8C0072
	s_barrier                                                  // 000000003248: BF8A0000
	v_mfma_f32_16x16x32_fp8_fp8 v[48:51], a[48:49], a[0:1], v[48:51]// 00000000324C: D3F30030 1CC20130
	v_mfma_f32_16x16x32_fp8_fp8 v[48:51], a[50:51], a[2:3], v[48:51]// 000000003254: D3F30030 1CC20532
	buffer_load_dwordx4 a[64:67], v46, s[84:87], 0 offen       // 00000000325C: E05C1000 8095402E
	v_mfma_f32_16x16x32_fp8_fp8 v[48:51], a[52:53], a[4:5], v[48:51]// 000000003264: D3F30030 1CC20934
	v_mfma_f32_16x16x32_fp8_fp8 v[48:51], a[54:55], a[6:7], v[48:51]// 00000000326C: D3F30030 1CC20D36
	v_mfma_f32_16x16x32_fp8_fp8 v[52:55], a[48:49], a[8:9], v[52:55]// 000000003274: D3F30034 1CD21130
	v_mfma_f32_16x16x32_fp8_fp8 v[52:55], a[50:51], a[10:11], v[52:55]// 00000000327C: D3F30034 1CD21532
	buffer_load_dwordx4 a[68:71], v46, s[84:87], 0 offen offset:1024// 000000003284: E05C1400 8095442E
	v_mfma_f32_16x16x32_fp8_fp8 v[52:55], a[52:53], a[12:13], v[52:55]// 00000000328C: D3F30034 1CD21934
	v_mfma_f32_16x16x32_fp8_fp8 v[52:55], a[54:55], a[14:15], v[52:55]// 000000003294: D3F30034 1CD21D36
	v_mfma_f32_16x16x32_fp8_fp8 v[56:59], a[48:49], a[16:17], v[56:59]// 00000000329C: D3F30038 1CE22130
	v_mfma_f32_16x16x32_fp8_fp8 v[56:59], a[50:51], a[18:19], v[56:59]// 0000000032A4: D3F30038 1CE22532
	buffer_load_dwordx4 a[72:75], v47, s[84:87], 0 offen       // 0000000032AC: E05C1000 8095482F
	v_mfma_f32_16x16x32_fp8_fp8 v[56:59], a[52:53], a[20:21], v[56:59]// 0000000032B4: D3F30038 1CE22934
	v_mfma_f32_16x16x32_fp8_fp8 v[56:59], a[54:55], a[22:23], v[56:59]// 0000000032BC: D3F30038 1CE22D36
	s_waitcnt vmcnt(3)                                         // 0000000032C4: BF8C0F73
	v_mfma_f32_16x16x32_fp8_fp8 v[60:63], a[56:57], a[0:1], v[60:63]// 0000000032C8: D3F3003C 1CF20138
	v_mfma_f32_16x16x32_fp8_fp8 v[60:63], a[58:59], a[2:3], v[60:63]// 0000000032D0: D3F3003C 1CF2053A
	buffer_load_dwordx4 a[76:79], v47, s[84:87], 0 offen offset:1024// 0000000032D8: E05C1400 80954C2F
	buffer_load_dword v40, s[20:23], 0 offen lds               // 0000000032E0: E0511000 80050028
	s_add_u32 m0, 0x100, s48                                   // 0000000032E8: 807C30FF 00000100
	v_mfma_f32_16x16x32_fp8_fp8 v[60:63], a[60:61], a[4:5], v[60:63]// 0000000032F0: D3F3003C 1CF2093C
	v_mfma_f32_16x16x32_fp8_fp8 v[60:63], a[62:63], a[6:7], v[60:63]// 0000000032F8: D3F3003C 1CF20D3E
	buffer_load_dword v41, s[20:23], 0 offen lds               // 000000003300: E0511000 80050029
	s_add_u32 m0, 0x200, s48                                   // 000000003308: 807C30FF 00000200
	v_mfma_f32_16x16x32_fp8_fp8 v[64:67], a[56:57], a[8:9], v[64:67]// 000000003310: D3F30040 1D021138
	v_mfma_f32_16x16x32_fp8_fp8 v[64:67], a[58:59], a[10:11], v[64:67]// 000000003318: D3F30040 1D02153A
	buffer_load_dword v42, s[20:23], 0 offen lds               // 000000003320: E0511000 8005002A
	s_add_u32 m0, 0x300, s48                                   // 000000003328: 807C30FF 00000300
	v_mfma_f32_16x16x32_fp8_fp8 v[64:67], a[60:61], a[12:13], v[64:67]// 000000003330: D3F30040 1D02193C
	v_mfma_f32_16x16x32_fp8_fp8 v[64:67], a[62:63], a[14:15], v[64:67]// 000000003338: D3F30040 1D021D3E
	buffer_load_dword v43, s[20:23], 0 offen lds               // 000000003340: E0511000 8005002B
	s_add_u32 m0, 0x400, s48                                   // 000000003348: 807C30FF 00000400
	v_mfma_f32_16x16x32_fp8_fp8 v[68:71], a[56:57], a[16:17], v[68:71]// 000000003350: D3F30044 1D122138
	v_mfma_f32_16x16x32_fp8_fp8 v[68:71], a[58:59], a[18:19], v[68:71]// 000000003358: D3F30044 1D12253A
	buffer_load_dword v44, s[20:23], 0 offen lds               // 000000003360: E0511000 8005002C
	s_add_u32 m0, 0x500, s48                                   // 000000003368: 807C30FF 00000500
	s_add_u32 s60, 0x80, s80                                   // 000000003370: 803C50FF 00000080
	s_cmp_lt_u32 s60, s81                                      // 000000003378: BF0A513C
	s_cselect_b32 s83, s83, 0                                  // 00000000337C: 85538053
	v_mfma_f32_16x16x32_fp8_fp8 v[68:71], a[60:61], a[20:21], v[68:71]// 000000003380: D3F30044 1D12293C
	v_mfma_f32_16x16x32_fp8_fp8 v[68:71], a[62:63], a[22:23], v[68:71]// 000000003388: D3F30044 1D122D3E
	buffer_load_dword v45, s[20:23], 0 offen lds               // 000000003390: E0511000 8005002D
	s_add_u32 m0, 0, s49                                       // 000000003398: 807C3180
	s_waitcnt vmcnt(6)                                         // 00000000339C: BF8C0F76
	v_mfma_f32_16x16x32_fp8_fp8 v[72:75], a[64:65], a[0:1], v[72:75]// 0000000033A0: D3F30048 1D220140
	v_mfma_f32_16x16x32_fp8_fp8 v[72:75], a[66:67], a[2:3], v[72:75]// 0000000033A8: D3F30048 1D220542
	buffer_load_dwordx4 a[48:51], v46, s[24:27], 0 offen       // 0000000033B0: E05C1000 8086302E
	v_mfma_f32_16x16x32_fp8_fp8 v[72:75], a[68:69], a[4:5], v[72:75]// 0000000033B8: D3F30048 1D220944
	v_mfma_f32_16x16x32_fp8_fp8 v[72:75], a[70:71], a[6:7], v[72:75]// 0000000033C0: D3F30048 1D220D46
	ds_read_b128 a[24:27], v2 offset:6272                      // 0000000033C8: DBFE1880 18000002
	ds_read_b128 a[28:31], v2 offset:6336                      // 0000000033D0: DBFE18C0 1C000002
	v_mfma_f32_16x16x32_fp8_fp8 v[84:87], a[72:73], a[0:1], v[84:87]// 0000000033D8: D3F30054 1D520148
	v_mfma_f32_16x16x32_fp8_fp8 v[84:87], a[74:75], a[2:3], v[84:87]// 0000000033E0: D3F30054 1D52054A
	buffer_load_dwordx4 a[52:55], v46, s[24:27], 0 offen offset:1024// 0000000033E8: E05C1400 8086342E
	v_mfma_f32_16x16x32_fp8_fp8 v[84:87], a[76:77], a[4:5], v[84:87]// 0000000033F0: D3F30054 1D52094C
	v_mfma_f32_16x16x32_fp8_fp8 v[84:87], a[78:79], a[6:7], v[84:87]// 0000000033F8: D3F30054 1D520D4E
	ds_read_b128 a[32:35], v2 offset:6784                      // 000000003400: DBFE1A80 20000002
	ds_read_b128 a[36:39], v2 offset:6848                      // 000000003408: DBFE1AC0 24000002
	v_mfma_f32_16x16x32_fp8_fp8 v[76:79], a[64:65], a[8:9], v[76:79]// 000000003410: D3F3004C 1D321140
	v_mfma_f32_16x16x32_fp8_fp8 v[76:79], a[66:67], a[10:11], v[76:79]// 000000003418: D3F3004C 1D321542
	buffer_load_dwordx4 a[56:59], v47, s[24:27], 0 offen       // 000000003420: E05C1000 8086382F
	v_mfma_f32_16x16x32_fp8_fp8 v[76:79], a[68:69], a[12:13], v[76:79]// 000000003428: D3F3004C 1D321944
	v_mfma_f32_16x16x32_fp8_fp8 v[76:79], a[70:71], a[14:15], v[76:79]// 000000003430: D3F3004C 1D321D46
	ds_read_b128 a[40:43], v2 offset:7296                      // 000000003438: DBFE1C80 28000002
	ds_read_b128 a[44:47], v2 offset:7360                      // 000000003440: DBFE1CC0 2C000002
	v_mfma_f32_16x16x32_fp8_fp8 v[88:91], a[72:73], a[8:9], v[88:91]// 000000003448: D3F30058 1D621148
	v_mfma_f32_16x16x32_fp8_fp8 v[88:91], a[74:75], a[10:11], v[88:91]// 000000003450: D3F30058 1D62154A
	buffer_load_dwordx4 a[60:63], v47, s[24:27], 0 offen offset:1024// 000000003458: E05C1400 80863C2F
	v_mfma_f32_16x16x32_fp8_fp8 v[88:91], a[76:77], a[12:13], v[88:91]// 000000003460: D3F30058 1D62194C
	v_mfma_f32_16x16x32_fp8_fp8 v[88:91], a[78:79], a[14:15], v[88:91]// 000000003468: D3F30058 1D621D4E
	v_mfma_f32_16x16x32_fp8_fp8 v[80:83], a[64:65], a[16:17], v[80:83]// 000000003470: D3F30050 1D422140
	v_mfma_f32_16x16x32_fp8_fp8 v[80:83], a[66:67], a[18:19], v[80:83]// 000000003478: D3F30050 1D422542
	v_mfma_f32_16x16x32_fp8_fp8 v[80:83], a[68:69], a[20:21], v[80:83]// 000000003480: D3F30050 1D422944
	s_add_u32 s60, 0x180, s80                                  // 000000003488: 803C50FF 00000180
	s_cmp_lt_u32 s60, s81                                      // 000000003490: BF0A513C
	s_cselect_b32 s57, s57, 0                                  // 000000003494: 85398039
	v_mfma_f32_16x16x32_fp8_fp8 v[80:83], a[70:71], a[22:23], v[80:83]// 000000003498: D3F30050 1D422D46
	s_add_u32 s60, 0x100, s80                                  // 0000000034A0: 803C50FF 00000100
	s_cmp_lt_u32 s60, s81                                      // 0000000034A8: BF0A513C
	s_cselect_b32 s58, s58, 0                                  // 0000000034AC: 853A803A
	v_mfma_f32_16x16x32_fp8_fp8 v[92:95], a[72:73], a[16:17], v[92:95]// 0000000034B0: D3F3005C 1D722148
	s_add_u32 s24, s58, s24                                    // 0000000034B8: 8018183A
	s_addc_u32 s25, 0, s25                                     // 0000000034BC: 82191980
	v_mfma_f32_16x16x32_fp8_fp8 v[92:95], a[74:75], a[18:19], v[92:95]// 0000000034C0: D3F3005C 1D72254A
	s_add_u32 s20, s57, s20                                    // 0000000034C8: 80141439
	s_addc_u32 s21, 0, s21                                     // 0000000034CC: 82151580
	v_mfma_f32_16x16x32_fp8_fp8 v[92:95], a[76:77], a[20:21], v[92:95]// 0000000034D0: D3F3005C 1D72294C
	s_add_u32 s84, s83, s84                                    // 0000000034D8: 80545453
	s_addc_u32 s85, 0, s85                                     // 0000000034DC: 82555580
	v_mfma_f32_16x16x32_fp8_fp8 v[92:95], a[78:79], a[22:23], v[92:95]// 0000000034E0: D3F3005C 1D722D4E
	s_addk_i32 s80, 0x80                                       // 0000000034E8: B7500080
	s_cmp_lt_i32 s80, s81                                      // 0000000034EC: BF045150
	s_cbranch_scc0 label_036A                                  // 0000000034F0: BF8400AD
	s_waitcnt vmcnt(2) lgkmcnt(0)                              // 0000000034F4: BF8C0072
	s_barrier                                                  // 0000000034F8: BF8A0000
	v_mfma_f32_16x16x32_fp8_fp8 v[48:51], a[48:49], a[24:25], v[48:51]// 0000000034FC: D3F30030 1CC23130
	v_mfma_f32_16x16x32_fp8_fp8 v[48:51], a[50:51], a[26:27], v[48:51]// 000000003504: D3F30030 1CC23532
	buffer_load_dwordx4 a[64:67], v46, s[84:87], 0 offen       // 00000000350C: E05C1000 8095402E
	v_mfma_f32_16x16x32_fp8_fp8 v[48:51], a[52:53], a[28:29], v[48:51]// 000000003514: D3F30030 1CC23934
	v_mfma_f32_16x16x32_fp8_fp8 v[48:51], a[54:55], a[30:31], v[48:51]// 00000000351C: D3F30030 1CC23D36
	v_mfma_f32_16x16x32_fp8_fp8 v[52:55], a[48:49], a[32:33], v[52:55]// 000000003524: D3F30034 1CD24130
	v_mfma_f32_16x16x32_fp8_fp8 v[52:55], a[50:51], a[34:35], v[52:55]// 00000000352C: D3F30034 1CD24532
	buffer_load_dwordx4 a[68:71], v46, s[84:87], 0 offen offset:1024// 000000003534: E05C1400 8095442E
	v_mfma_f32_16x16x32_fp8_fp8 v[52:55], a[52:53], a[36:37], v[52:55]// 00000000353C: D3F30034 1CD24934
	v_mfma_f32_16x16x32_fp8_fp8 v[52:55], a[54:55], a[38:39], v[52:55]// 000000003544: D3F30034 1CD24D36
	v_mfma_f32_16x16x32_fp8_fp8 v[56:59], a[48:49], a[40:41], v[56:59]// 00000000354C: D3F30038 1CE25130
	v_mfma_f32_16x16x32_fp8_fp8 v[56:59], a[50:51], a[42:43], v[56:59]// 000000003554: D3F30038 1CE25532
	buffer_load_dwordx4 a[72:75], v47, s[84:87], 0 offen       // 00000000355C: E05C1000 8095482F
	v_mfma_f32_16x16x32_fp8_fp8 v[56:59], a[52:53], a[44:45], v[56:59]// 000000003564: D3F30038 1CE25934
	v_mfma_f32_16x16x32_fp8_fp8 v[56:59], a[54:55], a[46:47], v[56:59]// 00000000356C: D3F30038 1CE25D36
	s_waitcnt vmcnt(3)                                         // 000000003574: BF8C0F73
	v_mfma_f32_16x16x32_fp8_fp8 v[60:63], a[56:57], a[24:25], v[60:63]// 000000003578: D3F3003C 1CF23138
	v_mfma_f32_16x16x32_fp8_fp8 v[60:63], a[58:59], a[26:27], v[60:63]// 000000003580: D3F3003C 1CF2353A
	buffer_load_dwordx4 a[76:79], v47, s[84:87], 0 offen offset:1024// 000000003588: E05C1400 80954C2F
	buffer_load_dword v40, s[20:23], 0 offen lds               // 000000003590: E0511000 80050028
	s_add_u32 m0, 0x100, s49                                   // 000000003598: 807C31FF 00000100
	v_mfma_f32_16x16x32_fp8_fp8 v[60:63], a[60:61], a[28:29], v[60:63]// 0000000035A0: D3F3003C 1CF2393C
	v_mfma_f32_16x16x32_fp8_fp8 v[60:63], a[62:63], a[30:31], v[60:63]// 0000000035A8: D3F3003C 1CF23D3E
	buffer_load_dword v41, s[20:23], 0 offen lds               // 0000000035B0: E0511000 80050029
	s_add_u32 m0, 0x200, s49                                   // 0000000035B8: 807C31FF 00000200
	v_mfma_f32_16x16x32_fp8_fp8 v[64:67], a[56:57], a[32:33], v[64:67]// 0000000035C0: D3F30040 1D024138
	v_mfma_f32_16x16x32_fp8_fp8 v[64:67], a[58:59], a[34:35], v[64:67]// 0000000035C8: D3F30040 1D02453A
	buffer_load_dword v42, s[20:23], 0 offen lds               // 0000000035D0: E0511000 8005002A
	s_add_u32 m0, 0x300, s49                                   // 0000000035D8: 807C31FF 00000300
	v_mfma_f32_16x16x32_fp8_fp8 v[64:67], a[60:61], a[36:37], v[64:67]// 0000000035E0: D3F30040 1D02493C
	v_mfma_f32_16x16x32_fp8_fp8 v[64:67], a[62:63], a[38:39], v[64:67]// 0000000035E8: D3F30040 1D024D3E
	buffer_load_dword v43, s[20:23], 0 offen lds               // 0000000035F0: E0511000 8005002B
	s_add_u32 m0, 0x400, s49                                   // 0000000035F8: 807C31FF 00000400
	v_mfma_f32_16x16x32_fp8_fp8 v[68:71], a[56:57], a[40:41], v[68:71]// 000000003600: D3F30044 1D125138
	v_mfma_f32_16x16x32_fp8_fp8 v[68:71], a[58:59], a[42:43], v[68:71]// 000000003608: D3F30044 1D12553A
	buffer_load_dword v44, s[20:23], 0 offen lds               // 000000003610: E0511000 8005002C
	s_add_u32 m0, 0x500, s49                                   // 000000003618: 807C31FF 00000500
	s_add_u32 s60, 0x80, s80                                   // 000000003620: 803C50FF 00000080
	s_cmp_lt_u32 s60, s81                                      // 000000003628: BF0A513C
	s_cselect_b32 s83, s83, 0                                  // 00000000362C: 85538053
	v_mfma_f32_16x16x32_fp8_fp8 v[68:71], a[60:61], a[44:45], v[68:71]// 000000003630: D3F30044 1D12593C
	v_mfma_f32_16x16x32_fp8_fp8 v[68:71], a[62:63], a[46:47], v[68:71]// 000000003638: D3F30044 1D125D3E
	buffer_load_dword v45, s[20:23], 0 offen lds               // 000000003640: E0511000 8005002D
	s_add_u32 m0, 0, s48                                       // 000000003648: 807C3080
	s_waitcnt vmcnt(6)                                         // 00000000364C: BF8C0F76
	v_mfma_f32_16x16x32_fp8_fp8 v[72:75], a[64:65], a[24:25], v[72:75]// 000000003650: D3F30048 1D223140
	v_mfma_f32_16x16x32_fp8_fp8 v[72:75], a[66:67], a[26:27], v[72:75]// 000000003658: D3F30048 1D223542
	buffer_load_dwordx4 a[48:51], v46, s[24:27], 0 offen       // 000000003660: E05C1000 8086302E
	v_mfma_f32_16x16x32_fp8_fp8 v[72:75], a[68:69], a[28:29], v[72:75]// 000000003668: D3F30048 1D223944
	v_mfma_f32_16x16x32_fp8_fp8 v[72:75], a[70:71], a[30:31], v[72:75]// 000000003670: D3F30048 1D223D46
	ds_read_b128 a[0:3], v2                                    // 000000003678: DBFE0000 00000002
	ds_read_b128 a[4:7], v2 offset:64                          // 000000003680: DBFE0040 04000002
	v_mfma_f32_16x16x32_fp8_fp8 v[84:87], a[72:73], a[24:25], v[84:87]// 000000003688: D3F30054 1D523148
	v_mfma_f32_16x16x32_fp8_fp8 v[84:87], a[74:75], a[26:27], v[84:87]// 000000003690: D3F30054 1D52354A
	buffer_load_dwordx4 a[52:55], v46, s[24:27], 0 offen offset:1024// 000000003698: E05C1400 8086342E
	v_mfma_f32_16x16x32_fp8_fp8 v[84:87], a[76:77], a[28:29], v[84:87]// 0000000036A0: D3F30054 1D52394C
	v_mfma_f32_16x16x32_fp8_fp8 v[84:87], a[78:79], a[30:31], v[84:87]// 0000000036A8: D3F30054 1D523D4E
	ds_read_b128 a[8:11], v2 offset:512                        // 0000000036B0: DBFE0200 08000002
	ds_read_b128 a[12:15], v2 offset:576                       // 0000000036B8: DBFE0240 0C000002
	v_mfma_f32_16x16x32_fp8_fp8 v[76:79], a[64:65], a[32:33], v[76:79]// 0000000036C0: D3F3004C 1D324140
	v_mfma_f32_16x16x32_fp8_fp8 v[76:79], a[66:67], a[34:35], v[76:79]// 0000000036C8: D3F3004C 1D324542
	buffer_load_dwordx4 a[56:59], v47, s[24:27], 0 offen       // 0000000036D0: E05C1000 8086382F
	v_mfma_f32_16x16x32_fp8_fp8 v[76:79], a[68:69], a[36:37], v[76:79]// 0000000036D8: D3F3004C 1D324944
	v_mfma_f32_16x16x32_fp8_fp8 v[76:79], a[70:71], a[38:39], v[76:79]// 0000000036E0: D3F3004C 1D324D46
	ds_read_b128 a[16:19], v2 offset:1024                      // 0000000036E8: DBFE0400 10000002
	ds_read_b128 a[20:23], v2 offset:1088                      // 0000000036F0: DBFE0440 14000002
	v_mfma_f32_16x16x32_fp8_fp8 v[88:91], a[72:73], a[32:33], v[88:91]// 0000000036F8: D3F30058 1D624148
	v_mfma_f32_16x16x32_fp8_fp8 v[88:91], a[74:75], a[34:35], v[88:91]// 000000003700: D3F30058 1D62454A
	buffer_load_dwordx4 a[60:63], v47, s[24:27], 0 offen offset:1024// 000000003708: E05C1400 80863C2F
	v_mfma_f32_16x16x32_fp8_fp8 v[88:91], a[76:77], a[36:37], v[88:91]// 000000003710: D3F30058 1D62494C
	v_mfma_f32_16x16x32_fp8_fp8 v[88:91], a[78:79], a[38:39], v[88:91]// 000000003718: D3F30058 1D624D4E
	v_mfma_f32_16x16x32_fp8_fp8 v[80:83], a[64:65], a[40:41], v[80:83]// 000000003720: D3F30050 1D425140
	v_mfma_f32_16x16x32_fp8_fp8 v[80:83], a[66:67], a[42:43], v[80:83]// 000000003728: D3F30050 1D425542
	v_mfma_f32_16x16x32_fp8_fp8 v[80:83], a[68:69], a[44:45], v[80:83]// 000000003730: D3F30050 1D425944
	s_add_u32 s60, 0x180, s80                                  // 000000003738: 803C50FF 00000180
	s_cmp_lt_u32 s60, s81                                      // 000000003740: BF0A513C
	s_cselect_b32 s57, s57, 0                                  // 000000003744: 85398039
	v_mfma_f32_16x16x32_fp8_fp8 v[80:83], a[70:71], a[46:47], v[80:83]// 000000003748: D3F30050 1D425D46
	s_add_u32 s60, 0x100, s80                                  // 000000003750: 803C50FF 00000100
	s_cmp_lt_u32 s60, s81                                      // 000000003758: BF0A513C
	s_cselect_b32 s58, s58, 0                                  // 00000000375C: 853A803A
	v_mfma_f32_16x16x32_fp8_fp8 v[92:95], a[72:73], a[40:41], v[92:95]// 000000003760: D3F3005C 1D725148
	s_add_u32 s24, s58, s24                                    // 000000003768: 8018183A
	s_addc_u32 s25, 0, s25                                     // 00000000376C: 82191980
	v_mfma_f32_16x16x32_fp8_fp8 v[92:95], a[74:75], a[42:43], v[92:95]// 000000003770: D3F3005C 1D72554A
	s_add_u32 s20, s57, s20                                    // 000000003778: 80141439
	s_addc_u32 s21, 0, s21                                     // 00000000377C: 82151580
	v_mfma_f32_16x16x32_fp8_fp8 v[92:95], a[76:77], a[44:45], v[92:95]// 000000003780: D3F3005C 1D72594C
	s_add_u32 s84, s83, s84                                    // 000000003788: 80545453
	s_addc_u32 s85, 0, s85                                     // 00000000378C: 82555580
	v_mfma_f32_16x16x32_fp8_fp8 v[92:95], a[78:79], a[46:47], v[92:95]// 000000003790: D3F3005C 1D725D4E
	s_addk_i32 s80, 0x80                                       // 000000003798: B7500080
	s_cmp_lt_i32 s80, s81                                      // 00000000379C: BF045150
	s_cbranch_scc0 label_036A                                  // 0000000037A0: BF840001
	s_branch label_0211                                        // 0000000037A4: BF82FEA7

00000000000037a8 <label_036A>:
	v_mul_f32_dpp v48, v24, v48 row_newbcast:0 row_mask:0xf bank_mask:0xf// 0000000037A8: 0A6060FA FF015018
	v_mul_f32_dpp v49, v24, v49 row_newbcast:1 row_mask:0xf bank_mask:0xf// 0000000037B0: 0A6262FA FF015118
	v_mul_f32_dpp v50, v24, v50 row_newbcast:2 row_mask:0xf bank_mask:0xf// 0000000037B8: 0A6464FA FF015218
	v_mul_f32_dpp v51, v24, v51 row_newbcast:3 row_mask:0xf bank_mask:0xf// 0000000037C0: 0A6666FA FF015318
	v_mul_f32_dpp v52, v24, v52 row_newbcast:0 row_mask:0xf bank_mask:0xf// 0000000037C8: 0A6868FA FF015018
	v_mul_f32_dpp v53, v24, v53 row_newbcast:1 row_mask:0xf bank_mask:0xf// 0000000037D0: 0A6A6AFA FF015118
	v_mul_f32_dpp v54, v24, v54 row_newbcast:2 row_mask:0xf bank_mask:0xf// 0000000037D8: 0A6C6CFA FF015218
	v_mul_f32_dpp v55, v24, v55 row_newbcast:3 row_mask:0xf bank_mask:0xf// 0000000037E0: 0A6E6EFA FF015318
	v_mul_f32_dpp v56, v24, v56 row_newbcast:0 row_mask:0xf bank_mask:0xf// 0000000037E8: 0A7070FA FF015018
	v_mul_f32_dpp v57, v24, v57 row_newbcast:1 row_mask:0xf bank_mask:0xf// 0000000037F0: 0A7272FA FF015118
	v_mul_f32_dpp v58, v24, v58 row_newbcast:2 row_mask:0xf bank_mask:0xf// 0000000037F8: 0A7474FA FF015218
	v_mul_f32_dpp v59, v24, v59 row_newbcast:3 row_mask:0xf bank_mask:0xf// 000000003800: 0A7676FA FF015318
	v_mul_f32_dpp v60, v24, v60 row_newbcast:4 row_mask:0xf bank_mask:0xf// 000000003808: 0A7878FA FF015418
	v_mul_f32_dpp v61, v24, v61 row_newbcast:5 row_mask:0xf bank_mask:0xf// 000000003810: 0A7A7AFA FF015518
	v_mul_f32_dpp v62, v24, v62 row_newbcast:6 row_mask:0xf bank_mask:0xf// 000000003818: 0A7C7CFA FF015618
	v_mul_f32_dpp v63, v24, v63 row_newbcast:7 row_mask:0xf bank_mask:0xf// 000000003820: 0A7E7EFA FF015718
	v_mul_f32_dpp v64, v24, v64 row_newbcast:4 row_mask:0xf bank_mask:0xf// 000000003828: 0A8080FA FF015418
	v_mul_f32_dpp v65, v24, v65 row_newbcast:5 row_mask:0xf bank_mask:0xf// 000000003830: 0A8282FA FF015518
	v_mul_f32_dpp v66, v24, v66 row_newbcast:6 row_mask:0xf bank_mask:0xf// 000000003838: 0A8484FA FF015618
	v_mul_f32_dpp v67, v24, v67 row_newbcast:7 row_mask:0xf bank_mask:0xf// 000000003840: 0A8686FA FF015718
	v_mul_f32_dpp v68, v24, v68 row_newbcast:4 row_mask:0xf bank_mask:0xf// 000000003848: 0A8888FA FF015418
	v_mul_f32_dpp v69, v24, v69 row_newbcast:5 row_mask:0xf bank_mask:0xf// 000000003850: 0A8A8AFA FF015518
	v_mul_f32_dpp v70, v24, v70 row_newbcast:6 row_mask:0xf bank_mask:0xf// 000000003858: 0A8C8CFA FF015618
	v_mul_f32_dpp v71, v24, v71 row_newbcast:7 row_mask:0xf bank_mask:0xf// 000000003860: 0A8E8EFA FF015718
	v_mul_f32_dpp v72, v26, v72 row_newbcast:0 row_mask:0xf bank_mask:0xf// 000000003868: 0A9090FA FF01501A
	v_mul_f32_dpp v73, v26, v73 row_newbcast:1 row_mask:0xf bank_mask:0xf// 000000003870: 0A9292FA FF01511A
	v_mul_f32_dpp v74, v26, v74 row_newbcast:2 row_mask:0xf bank_mask:0xf// 000000003878: 0A9494FA FF01521A
	v_mul_f32_dpp v75, v26, v75 row_newbcast:3 row_mask:0xf bank_mask:0xf// 000000003880: 0A9696FA FF01531A
	v_mul_f32_dpp v76, v26, v76 row_newbcast:0 row_mask:0xf bank_mask:0xf// 000000003888: 0A9898FA FF01501A
	v_mul_f32_dpp v77, v26, v77 row_newbcast:1 row_mask:0xf bank_mask:0xf// 000000003890: 0A9A9AFA FF01511A
	v_mul_f32_dpp v78, v26, v78 row_newbcast:2 row_mask:0xf bank_mask:0xf// 000000003898: 0A9C9CFA FF01521A
	v_mul_f32_dpp v79, v26, v79 row_newbcast:3 row_mask:0xf bank_mask:0xf// 0000000038A0: 0A9E9EFA FF01531A
	v_mul_f32_dpp v80, v26, v80 row_newbcast:0 row_mask:0xf bank_mask:0xf// 0000000038A8: 0AA0A0FA FF01501A
	v_mul_f32_dpp v81, v26, v81 row_newbcast:1 row_mask:0xf bank_mask:0xf// 0000000038B0: 0AA2A2FA FF01511A
	v_mul_f32_dpp v82, v26, v82 row_newbcast:2 row_mask:0xf bank_mask:0xf// 0000000038B8: 0AA4A4FA FF01521A
	v_mul_f32_dpp v83, v26, v83 row_newbcast:3 row_mask:0xf bank_mask:0xf// 0000000038C0: 0AA6A6FA FF01531A
	v_mul_f32_dpp v84, v26, v84 row_newbcast:4 row_mask:0xf bank_mask:0xf// 0000000038C8: 0AA8A8FA FF01541A
	v_mul_f32_dpp v85, v26, v85 row_newbcast:5 row_mask:0xf bank_mask:0xf// 0000000038D0: 0AAAAAFA FF01551A
	v_mul_f32_dpp v86, v26, v86 row_newbcast:6 row_mask:0xf bank_mask:0xf// 0000000038D8: 0AACACFA FF01561A
	v_mul_f32_dpp v87, v26, v87 row_newbcast:7 row_mask:0xf bank_mask:0xf// 0000000038E0: 0AAEAEFA FF01571A
	v_mul_f32_dpp v88, v26, v88 row_newbcast:4 row_mask:0xf bank_mask:0xf// 0000000038E8: 0AB0B0FA FF01541A
	v_mul_f32_dpp v89, v26, v89 row_newbcast:5 row_mask:0xf bank_mask:0xf// 0000000038F0: 0AB2B2FA FF01551A
	v_mul_f32_dpp v90, v26, v90 row_newbcast:6 row_mask:0xf bank_mask:0xf// 0000000038F8: 0AB4B4FA FF01561A
	v_mul_f32_dpp v91, v26, v91 row_newbcast:7 row_mask:0xf bank_mask:0xf// 000000003900: 0AB6B6FA FF01571A
	v_mul_f32_dpp v92, v26, v92 row_newbcast:4 row_mask:0xf bank_mask:0xf// 000000003908: 0AB8B8FA FF01541A
	v_mul_f32_dpp v93, v26, v93 row_newbcast:5 row_mask:0xf bank_mask:0xf// 000000003910: 0ABABAFA FF01551A
	v_mul_f32_dpp v94, v26, v94 row_newbcast:6 row_mask:0xf bank_mask:0xf// 000000003918: 0ABCBCFA FF01561A
	v_mul_f32_dpp v95, v26, v95 row_newbcast:7 row_mask:0xf bank_mask:0xf// 000000003920: 0ABEBEFA FF01571A
	v_mov_b32_e32 v4, v31                                      // 000000003928: 7E08031F
	v_mov_b32_e32 v5, v4                                       // 00000000392C: 7E0A0304
	v_pk_mul_f32 v[48:49], v[4:5], v[48:49]                    // 000000003930: D3B14030 18026104
	v_pk_mul_f32 v[72:73], v[4:5], v[72:73]                    // 000000003938: D3B14048 18029104
	v_pk_mul_f32 v[50:51], v[4:5], v[50:51]                    // 000000003940: D3B14032 18026504
	v_pk_mul_f32 v[74:75], v[4:5], v[74:75]                    // 000000003948: D3B1404A 18029504
	v_pk_mul_f32 v[60:61], v[4:5], v[60:61]                    // 000000003950: D3B1403C 18027904
	v_pk_mul_f32 v[84:85], v[4:5], v[84:85]                    // 000000003958: D3B14054 1802A904
	v_pk_mul_f32 v[62:63], v[4:5], v[62:63]                    // 000000003960: D3B1403E 18027D04
	v_pk_mul_f32 v[86:87], v[4:5], v[86:87]                    // 000000003968: D3B14056 1802AD04
	v_mov_b32_e32 v4, v32                                      // 000000003970: 7E080320
	v_mov_b32_e32 v5, v4                                       // 000000003974: 7E0A0304
	v_pk_mul_f32 v[52:53], v[4:5], v[52:53]                    // 000000003978: D3B14034 18026904
	v_pk_mul_f32 v[76:77], v[4:5], v[76:77]                    // 000000003980: D3B1404C 18029904
	v_pk_mul_f32 v[54:55], v[4:5], v[54:55]                    // 000000003988: D3B14036 18026D04
	v_pk_mul_f32 v[78:79], v[4:5], v[78:79]                    // 000000003990: D3B1404E 18029D04
	v_pk_mul_f32 v[64:65], v[4:5], v[64:65]                    // 000000003998: D3B14040 18028104
	v_pk_mul_f32 v[88:89], v[4:5], v[88:89]                    // 0000000039A0: D3B14058 1802B104
	v_pk_mul_f32 v[66:67], v[4:5], v[66:67]                    // 0000000039A8: D3B14042 18028504
	v_pk_mul_f32 v[90:91], v[4:5], v[90:91]                    // 0000000039B0: D3B1405A 1802B504
	v_mov_b32_e32 v4, v33                                      // 0000000039B8: 7E080321
	v_mov_b32_e32 v5, v4                                       // 0000000039BC: 7E0A0304
	v_pk_mul_f32 v[56:57], v[4:5], v[56:57]                    // 0000000039C0: D3B14038 18027104
	v_pk_mul_f32 v[80:81], v[4:5], v[80:81]                    // 0000000039C8: D3B14050 1802A104
	v_pk_mul_f32 v[58:59], v[4:5], v[58:59]                    // 0000000039D0: D3B1403A 18027504
	v_pk_mul_f32 v[82:83], v[4:5], v[82:83]                    // 0000000039D8: D3B14052 1802A504
	v_pk_mul_f32 v[68:69], v[4:5], v[68:69]                    // 0000000039E0: D3B14044 18028904
	v_pk_mul_f32 v[92:93], v[4:5], v[92:93]                    // 0000000039E8: D3B1405C 1802B904
	v_pk_mul_f32 v[70:71], v[4:5], v[70:71]                    // 0000000039F0: D3B14046 18028D04
	v_pk_mul_f32 v[94:95], v[4:5], v[94:95]                    // 0000000039F8: D3B1405E 1802BD04
	s_cmp_eq_u32 s88, 0                                        // 000000003A00: BF068058
	s_cbranch_scc0 label_079B                                  // 000000003A04: BF840399
	s_cmp_eq_u32 s89, 0                                        // 000000003A08: BF068059
	s_cbranch_scc1 label_04F9                                  // 000000003A0C: BF8500F5
	v_mov_b32_e32 v8, v1                                       // 000000003A10: 7E100301
	v_mov_b32_e32 v9, v1                                       // 000000003A14: 7E120301
	s_mov_b32 s60, s6                                          // 000000003A18: BEBC0006
	s_mov_b32 s61, s6                                          // 000000003A1C: BEBD0006
	v_pk_mul_f32 v[4:5], v[48:49], v[48:49]                    // 000000003A20: D3B14004 18026130
	v_pk_mul_f32 v[6:7], v[50:51], v[50:51]                    // 000000003A28: D3B14006 18026532
	v_pk_fma_f32 v[4:5], v[4:5], s[78:79], v[8:9]              // 000000003A30: D3B04004 1C209D04
	v_pk_fma_f32 v[6:7], v[6:7], s[78:79], v[8:9]              // 000000003A38: D3B04006 1C209D06
	v_pk_mul_f32 v[4:5], v[4:5], v[48:49]                      // 000000003A40: D3B14004 18026104
	v_pk_mul_f32 v[6:7], v[6:7], v[50:51]                      // 000000003A48: D3B14006 18026506
	v_pk_mul_f32 v[4:5], v[4:5], s[60:61]                      // 000000003A50: D3B14004 18007904
	v_pk_mul_f32 v[6:7], v[6:7], s[60:61]                      // 000000003A58: D3B14006 18007906
	v_exp_f32_e32 v4, v4                                       // 000000003A60: 7E084104
	v_exp_f32_e32 v5, v5                                       // 000000003A64: 7E0A4105
	v_exp_f32_e32 v6, v6                                       // 000000003A68: 7E0C4106
	v_exp_f32_e32 v7, v7                                       // 000000003A6C: 7E0E4107
	v_add_f32_e64 v4, v4, 1.0                                  // 000000003A70: D1010004 0001E504
	v_add_f32_e64 v5, v5, 1.0                                  // 000000003A78: D1010005 0001E505
	v_add_f32_e64 v6, v6, 1.0                                  // 000000003A80: D1010006 0001E506
	v_add_f32_e64 v7, v7, 1.0                                  // 000000003A88: D1010007 0001E507
	v_rcp_f32_e32 v4, v4                                       // 000000003A90: 7E084504
	v_rcp_f32_e32 v5, v5                                       // 000000003A94: 7E0A4505
	v_rcp_f32_e32 v6, v6                                       // 000000003A98: 7E0C4506
	v_rcp_f32_e32 v7, v7                                       // 000000003A9C: 7E0E4507
	v_mul_f32_e32 v48, v48, v4                                 // 000000003AA0: 0A600930
	v_mul_f32_e32 v49, v49, v5                                 // 000000003AA4: 0A620B31
	v_mul_f32_e32 v50, v50, v6                                 // 000000003AA8: 0A640D32
	v_mul_f32_e32 v51, v51, v7                                 // 000000003AAC: 0A660F33
	v_mul_f32_e32 v48, v48, v72                                // 000000003AB0: 0A609130
	v_mul_f32_e32 v49, v49, v73                                // 000000003AB4: 0A629331
	v_mul_f32_e32 v50, v50, v74                                // 000000003AB8: 0A649532
	v_mul_f32_e32 v51, v51, v75                                // 000000003ABC: 0A669733
	v_pk_mul_f32 v[4:5], v[52:53], v[52:53]                    // 000000003AC0: D3B14004 18026934
	v_pk_mul_f32 v[6:7], v[54:55], v[54:55]                    // 000000003AC8: D3B14006 18026D36
	v_pk_fma_f32 v[4:5], v[4:5], s[78:79], v[8:9]              // 000000003AD0: D3B04004 1C209D04
	v_pk_fma_f32 v[6:7], v[6:7], s[78:79], v[8:9]              // 000000003AD8: D3B04006 1C209D06
	v_pk_mul_f32 v[4:5], v[4:5], v[52:53]                      // 000000003AE0: D3B14004 18026904
	v_pk_mul_f32 v[6:7], v[6:7], v[54:55]                      // 000000003AE8: D3B14006 18026D06
	v_pk_mul_f32 v[4:5], v[4:5], s[60:61]                      // 000000003AF0: D3B14004 18007904
	v_pk_mul_f32 v[6:7], v[6:7], s[60:61]                      // 000000003AF8: D3B14006 18007906
	v_exp_f32_e32 v4, v4                                       // 000000003B00: 7E084104
	v_exp_f32_e32 v5, v5                                       // 000000003B04: 7E0A4105
	v_exp_f32_e32 v6, v6                                       // 000000003B08: 7E0C4106
	v_exp_f32_e32 v7, v7                                       // 000000003B0C: 7E0E4107
	v_add_f32_e64 v4, v4, 1.0                                  // 000000003B10: D1010004 0001E504
	v_add_f32_e64 v5, v5, 1.0                                  // 000000003B18: D1010005 0001E505
	v_add_f32_e64 v6, v6, 1.0                                  // 000000003B20: D1010006 0001E506
	v_add_f32_e64 v7, v7, 1.0                                  // 000000003B28: D1010007 0001E507
	v_rcp_f32_e32 v4, v4                                       // 000000003B30: 7E084504
	v_rcp_f32_e32 v5, v5                                       // 000000003B34: 7E0A4505
	v_rcp_f32_e32 v6, v6                                       // 000000003B38: 7E0C4506
	v_rcp_f32_e32 v7, v7                                       // 000000003B3C: 7E0E4507
	v_mul_f32_e32 v52, v52, v4                                 // 000000003B40: 0A680934
	v_mul_f32_e32 v53, v53, v5                                 // 000000003B44: 0A6A0B35
	v_mul_f32_e32 v54, v54, v6                                 // 000000003B48: 0A6C0D36
	v_mul_f32_e32 v55, v55, v7                                 // 000000003B4C: 0A6E0F37
	v_mul_f32_e32 v52, v52, v76                                // 000000003B50: 0A689934
	v_mul_f32_e32 v53, v53, v77                                // 000000003B54: 0A6A9B35
	v_mul_f32_e32 v54, v54, v78                                // 000000003B58: 0A6C9D36
	v_mul_f32_e32 v55, v55, v79                                // 000000003B5C: 0A6E9F37
	v_pk_mul_f32 v[4:5], v[56:57], v[56:57]                    // 000000003B60: D3B14004 18027138
	v_pk_mul_f32 v[6:7], v[58:59], v[58:59]                    // 000000003B68: D3B14006 1802753A
	v_pk_fma_f32 v[4:5], v[4:5], s[78:79], v[8:9]              // 000000003B70: D3B04004 1C209D04
	v_pk_fma_f32 v[6:7], v[6:7], s[78:79], v[8:9]              // 000000003B78: D3B04006 1C209D06
	v_pk_mul_f32 v[4:5], v[4:5], v[56:57]                      // 000000003B80: D3B14004 18027104
	v_pk_mul_f32 v[6:7], v[6:7], v[58:59]                      // 000000003B88: D3B14006 18027506
	v_pk_mul_f32 v[4:5], v[4:5], s[60:61]                      // 000000003B90: D3B14004 18007904
	v_pk_mul_f32 v[6:7], v[6:7], s[60:61]                      // 000000003B98: D3B14006 18007906
	v_exp_f32_e32 v4, v4                                       // 000000003BA0: 7E084104
	v_exp_f32_e32 v5, v5                                       // 000000003BA4: 7E0A4105
	v_exp_f32_e32 v6, v6                                       // 000000003BA8: 7E0C4106
	v_exp_f32_e32 v7, v7                                       // 000000003BAC: 7E0E4107
	v_add_f32_e64 v4, v4, 1.0                                  // 000000003BB0: D1010004 0001E504
	v_add_f32_e64 v5, v5, 1.0                                  // 000000003BB8: D1010005 0001E505
	v_add_f32_e64 v6, v6, 1.0                                  // 000000003BC0: D1010006 0001E506
	v_add_f32_e64 v7, v7, 1.0                                  // 000000003BC8: D1010007 0001E507
	v_rcp_f32_e32 v4, v4                                       // 000000003BD0: 7E084504
	v_rcp_f32_e32 v5, v5                                       // 000000003BD4: 7E0A4505
	v_rcp_f32_e32 v6, v6                                       // 000000003BD8: 7E0C4506
	v_rcp_f32_e32 v7, v7                                       // 000000003BDC: 7E0E4507
	v_mul_f32_e32 v56, v56, v4                                 // 000000003BE0: 0A700938
	v_mul_f32_e32 v57, v57, v5                                 // 000000003BE4: 0A720B39
	v_mul_f32_e32 v58, v58, v6                                 // 000000003BE8: 0A740D3A
	v_mul_f32_e32 v59, v59, v7                                 // 000000003BEC: 0A760F3B
	v_mul_f32_e32 v56, v56, v80                                // 000000003BF0: 0A70A138
	v_mul_f32_e32 v57, v57, v81                                // 000000003BF4: 0A72A339
	v_mul_f32_e32 v58, v58, v82                                // 000000003BF8: 0A74A53A
	v_mul_f32_e32 v59, v59, v83                                // 000000003BFC: 0A76A73B
	v_pk_mul_f32 v[4:5], v[60:61], v[60:61]                    // 000000003C00: D3B14004 1802793C
	v_pk_mul_f32 v[6:7], v[62:63], v[62:63]                    // 000000003C08: D3B14006 18027D3E
	v_pk_fma_f32 v[4:5], v[4:5], s[78:79], v[8:9]              // 000000003C10: D3B04004 1C209D04
	v_pk_fma_f32 v[6:7], v[6:7], s[78:79], v[8:9]              // 000000003C18: D3B04006 1C209D06
	v_pk_mul_f32 v[4:5], v[4:5], v[60:61]                      // 000000003C20: D3B14004 18027904
	v_pk_mul_f32 v[6:7], v[6:7], v[62:63]                      // 000000003C28: D3B14006 18027D06
	v_pk_mul_f32 v[4:5], v[4:5], s[60:61]                      // 000000003C30: D3B14004 18007904
	v_pk_mul_f32 v[6:7], v[6:7], s[60:61]                      // 000000003C38: D3B14006 18007906
	v_exp_f32_e32 v4, v4                                       // 000000003C40: 7E084104
	v_exp_f32_e32 v5, v5                                       // 000000003C44: 7E0A4105
	v_exp_f32_e32 v6, v6                                       // 000000003C48: 7E0C4106
	v_exp_f32_e32 v7, v7                                       // 000000003C4C: 7E0E4107
	v_add_f32_e64 v4, v4, 1.0                                  // 000000003C50: D1010004 0001E504
	v_add_f32_e64 v5, v5, 1.0                                  // 000000003C58: D1010005 0001E505
	v_add_f32_e64 v6, v6, 1.0                                  // 000000003C60: D1010006 0001E506
	v_add_f32_e64 v7, v7, 1.0                                  // 000000003C68: D1010007 0001E507
	v_rcp_f32_e32 v4, v4                                       // 000000003C70: 7E084504
	v_rcp_f32_e32 v5, v5                                       // 000000003C74: 7E0A4505
	v_rcp_f32_e32 v6, v6                                       // 000000003C78: 7E0C4506
	v_rcp_f32_e32 v7, v7                                       // 000000003C7C: 7E0E4507
	v_mul_f32_e32 v60, v60, v4                                 // 000000003C80: 0A78093C
	v_mul_f32_e32 v61, v61, v5                                 // 000000003C84: 0A7A0B3D
	v_mul_f32_e32 v62, v62, v6                                 // 000000003C88: 0A7C0D3E
	v_mul_f32_e32 v63, v63, v7                                 // 000000003C8C: 0A7E0F3F
	v_mul_f32_e32 v60, v60, v84                                // 000000003C90: 0A78A93C
	v_mul_f32_e32 v61, v61, v85                                // 000000003C94: 0A7AAB3D
	v_mul_f32_e32 v62, v62, v86                                // 000000003C98: 0A7CAD3E
	v_mul_f32_e32 v63, v63, v87                                // 000000003C9C: 0A7EAF3F
	v_pk_mul_f32 v[4:5], v[64:65], v[64:65]                    // 000000003CA0: D3B14004 18028140
	v_pk_mul_f32 v[6:7], v[66:67], v[66:67]                    // 000000003CA8: D3B14006 18028542
	v_pk_fma_f32 v[4:5], v[4:5], s[78:79], v[8:9]              // 000000003CB0: D3B04004 1C209D04
	v_pk_fma_f32 v[6:7], v[6:7], s[78:79], v[8:9]              // 000000003CB8: D3B04006 1C209D06
	v_pk_mul_f32 v[4:5], v[4:5], v[64:65]                      // 000000003CC0: D3B14004 18028104
	v_pk_mul_f32 v[6:7], v[6:7], v[66:67]                      // 000000003CC8: D3B14006 18028506
	v_pk_mul_f32 v[4:5], v[4:5], s[60:61]                      // 000000003CD0: D3B14004 18007904
	v_pk_mul_f32 v[6:7], v[6:7], s[60:61]                      // 000000003CD8: D3B14006 18007906
	v_exp_f32_e32 v4, v4                                       // 000000003CE0: 7E084104
	v_exp_f32_e32 v5, v5                                       // 000000003CE4: 7E0A4105
	v_exp_f32_e32 v6, v6                                       // 000000003CE8: 7E0C4106
	v_exp_f32_e32 v7, v7                                       // 000000003CEC: 7E0E4107
	v_add_f32_e64 v4, v4, 1.0                                  // 000000003CF0: D1010004 0001E504
	v_add_f32_e64 v5, v5, 1.0                                  // 000000003CF8: D1010005 0001E505
	v_add_f32_e64 v6, v6, 1.0                                  // 000000003D00: D1010006 0001E506
	v_add_f32_e64 v7, v7, 1.0                                  // 000000003D08: D1010007 0001E507
	v_rcp_f32_e32 v4, v4                                       // 000000003D10: 7E084504
	v_rcp_f32_e32 v5, v5                                       // 000000003D14: 7E0A4505
	v_rcp_f32_e32 v6, v6                                       // 000000003D18: 7E0C4506
	v_rcp_f32_e32 v7, v7                                       // 000000003D1C: 7E0E4507
	v_mul_f32_e32 v64, v64, v4                                 // 000000003D20: 0A800940
	v_mul_f32_e32 v65, v65, v5                                 // 000000003D24: 0A820B41
	v_mul_f32_e32 v66, v66, v6                                 // 000000003D28: 0A840D42
	v_mul_f32_e32 v67, v67, v7                                 // 000000003D2C: 0A860F43
	v_mul_f32_e32 v64, v64, v88                                // 000000003D30: 0A80B140
	v_mul_f32_e32 v65, v65, v89                                // 000000003D34: 0A82B341
	v_mul_f32_e32 v66, v66, v90                                // 000000003D38: 0A84B542
	v_mul_f32_e32 v67, v67, v91                                // 000000003D3C: 0A86B743
	v_pk_mul_f32 v[4:5], v[68:69], v[68:69]                    // 000000003D40: D3B14004 18028944
	v_pk_mul_f32 v[6:7], v[70:71], v[70:71]                    // 000000003D48: D3B14006 18028D46
	v_pk_fma_f32 v[4:5], v[4:5], s[78:79], v[8:9]              // 000000003D50: D3B04004 1C209D04
	v_pk_fma_f32 v[6:7], v[6:7], s[78:79], v[8:9]              // 000000003D58: D3B04006 1C209D06
	v_pk_mul_f32 v[4:5], v[4:5], v[68:69]                      // 000000003D60: D3B14004 18028904
	v_pk_mul_f32 v[6:7], v[6:7], v[70:71]                      // 000000003D68: D3B14006 18028D06
	v_pk_mul_f32 v[4:5], v[4:5], s[60:61]                      // 000000003D70: D3B14004 18007904
	v_pk_mul_f32 v[6:7], v[6:7], s[60:61]                      // 000000003D78: D3B14006 18007906
	v_exp_f32_e32 v4, v4                                       // 000000003D80: 7E084104
	v_exp_f32_e32 v5, v5                                       // 000000003D84: 7E0A4105
	v_exp_f32_e32 v6, v6                                       // 000000003D88: 7E0C4106
	v_exp_f32_e32 v7, v7                                       // 000000003D8C: 7E0E4107
	v_add_f32_e64 v4, v4, 1.0                                  // 000000003D90: D1010004 0001E504
	v_add_f32_e64 v5, v5, 1.0                                  // 000000003D98: D1010005 0001E505
	v_add_f32_e64 v6, v6, 1.0                                  // 000000003DA0: D1010006 0001E506
	v_add_f32_e64 v7, v7, 1.0                                  // 000000003DA8: D1010007 0001E507
	v_rcp_f32_e32 v4, v4                                       // 000000003DB0: 7E084504
	v_rcp_f32_e32 v5, v5                                       // 000000003DB4: 7E0A4505
	v_rcp_f32_e32 v6, v6                                       // 000000003DB8: 7E0C4506
	v_rcp_f32_e32 v7, v7                                       // 000000003DBC: 7E0E4507
	v_mul_f32_e32 v68, v68, v4                                 // 000000003DC0: 0A880944
	v_mul_f32_e32 v69, v69, v5                                 // 000000003DC4: 0A8A0B45
	v_mul_f32_e32 v70, v70, v6                                 // 000000003DC8: 0A8C0D46
	v_mul_f32_e32 v71, v71, v7                                 // 000000003DCC: 0A8E0F47
	v_mul_f32_e32 v68, v68, v92                                // 000000003DD0: 0A88B944
	v_mul_f32_e32 v69, v69, v93                                // 000000003DD4: 0A8ABB45
	v_mul_f32_e32 v70, v70, v94                                // 000000003DD8: 0A8CBD46
	v_mul_f32_e32 v71, v71, v95                                // 000000003DDC: 0A8EBF47
	s_branch label_05B9                                        // 000000003DE0: BF8200C0

0000000000003de4 <label_04F9>:
	v_mul_f32_e64 v4, -v48, s6                                 // 000000003DE4: D1050004 20000D30
	v_mul_f32_e64 v5, -v49, s6                                 // 000000003DEC: D1050005 20000D31
	v_mul_f32_e64 v6, -v50, s6                                 // 000000003DF4: D1050006 20000D32
	v_mul_f32_e64 v7, -v51, s6                                 // 000000003DFC: D1050007 20000D33
	v_exp_f32_e32 v4, v4                                       // 000000003E04: 7E084104
	v_exp_f32_e32 v5, v5                                       // 000000003E08: 7E0A4105
	v_exp_f32_e32 v6, v6                                       // 000000003E0C: 7E0C4106
	v_exp_f32_e32 v7, v7                                       // 000000003E10: 7E0E4107
	v_add_f32_e64 v4, v4, 1.0                                  // 000000003E14: D1010004 0001E504
	v_add_f32_e64 v5, v5, 1.0                                  // 000000003E1C: D1010005 0001E505
	v_add_f32_e64 v6, v6, 1.0                                  // 000000003E24: D1010006 0001E506
	v_add_f32_e64 v7, v7, 1.0                                  // 000000003E2C: D1010007 0001E507
	v_rcp_f32_e32 v4, v4                                       // 000000003E34: 7E084504
	v_rcp_f32_e32 v5, v5                                       // 000000003E38: 7E0A4505
	v_rcp_f32_e32 v6, v6                                       // 000000003E3C: 7E0C4506
	v_rcp_f32_e32 v7, v7                                       // 000000003E40: 7E0E4507
	v_mul_f32_e32 v48, v48, v4                                 // 000000003E44: 0A600930
	v_mul_f32_e32 v49, v49, v5                                 // 000000003E48: 0A620B31
	v_mul_f32_e32 v50, v50, v6                                 // 000000003E4C: 0A640D32
	v_mul_f32_e32 v51, v51, v7                                 // 000000003E50: 0A660F33
	v_mul_f32_e32 v48, v48, v72                                // 000000003E54: 0A609130
	v_mul_f32_e32 v49, v49, v73                                // 000000003E58: 0A629331
	v_mul_f32_e32 v50, v50, v74                                // 000000003E5C: 0A649532
	v_mul_f32_e32 v51, v51, v75                                // 000000003E60: 0A669733
	v_mul_f32_e64 v4, -v52, s6                                 // 000000003E64: D1050004 20000D34
	v_mul_f32_e64 v5, -v53, s6                                 // 000000003E6C: D1050005 20000D35
	v_mul_f32_e64 v6, -v54, s6                                 // 000000003E74: D1050006 20000D36
	v_mul_f32_e64 v7, -v55, s6                                 // 000000003E7C: D1050007 20000D37
	v_exp_f32_e32 v4, v4                                       // 000000003E84: 7E084104
	v_exp_f32_e32 v5, v5                                       // 000000003E88: 7E0A4105
	v_exp_f32_e32 v6, v6                                       // 000000003E8C: 7E0C4106
	v_exp_f32_e32 v7, v7                                       // 000000003E90: 7E0E4107
	v_add_f32_e64 v4, v4, 1.0                                  // 000000003E94: D1010004 0001E504
	v_add_f32_e64 v5, v5, 1.0                                  // 000000003E9C: D1010005 0001E505
	v_add_f32_e64 v6, v6, 1.0                                  // 000000003EA4: D1010006 0001E506
	v_add_f32_e64 v7, v7, 1.0                                  // 000000003EAC: D1010007 0001E507
	v_rcp_f32_e32 v4, v4                                       // 000000003EB4: 7E084504
	v_rcp_f32_e32 v5, v5                                       // 000000003EB8: 7E0A4505
	v_rcp_f32_e32 v6, v6                                       // 000000003EBC: 7E0C4506
	v_rcp_f32_e32 v7, v7                                       // 000000003EC0: 7E0E4507
	v_mul_f32_e32 v52, v52, v4                                 // 000000003EC4: 0A680934
	v_mul_f32_e32 v53, v53, v5                                 // 000000003EC8: 0A6A0B35
	v_mul_f32_e32 v54, v54, v6                                 // 000000003ECC: 0A6C0D36
	v_mul_f32_e32 v55, v55, v7                                 // 000000003ED0: 0A6E0F37
	v_mul_f32_e32 v52, v52, v76                                // 000000003ED4: 0A689934
	v_mul_f32_e32 v53, v53, v77                                // 000000003ED8: 0A6A9B35
	v_mul_f32_e32 v54, v54, v78                                // 000000003EDC: 0A6C9D36
	v_mul_f32_e32 v55, v55, v79                                // 000000003EE0: 0A6E9F37
	v_mul_f32_e64 v4, -v56, s6                                 // 000000003EE4: D1050004 20000D38
	v_mul_f32_e64 v5, -v57, s6                                 // 000000003EEC: D1050005 20000D39
	v_mul_f32_e64 v6, -v58, s6                                 // 000000003EF4: D1050006 20000D3A
	v_mul_f32_e64 v7, -v59, s6                                 // 000000003EFC: D1050007 20000D3B
	v_exp_f32_e32 v4, v4                                       // 000000003F04: 7E084104
	v_exp_f32_e32 v5, v5                                       // 000000003F08: 7E0A4105
	v_exp_f32_e32 v6, v6                                       // 000000003F0C: 7E0C4106
	v_exp_f32_e32 v7, v7                                       // 000000003F10: 7E0E4107
	v_add_f32_e64 v4, v4, 1.0                                  // 000000003F14: D1010004 0001E504
	v_add_f32_e64 v5, v5, 1.0                                  // 000000003F1C: D1010005 0001E505
	v_add_f32_e64 v6, v6, 1.0                                  // 000000003F24: D1010006 0001E506
	v_add_f32_e64 v7, v7, 1.0                                  // 000000003F2C: D1010007 0001E507
	v_rcp_f32_e32 v4, v4                                       // 000000003F34: 7E084504
	v_rcp_f32_e32 v5, v5                                       // 000000003F38: 7E0A4505
	v_rcp_f32_e32 v6, v6                                       // 000000003F3C: 7E0C4506
	v_rcp_f32_e32 v7, v7                                       // 000000003F40: 7E0E4507
	v_mul_f32_e32 v56, v56, v4                                 // 000000003F44: 0A700938
	v_mul_f32_e32 v57, v57, v5                                 // 000000003F48: 0A720B39
	v_mul_f32_e32 v58, v58, v6                                 // 000000003F4C: 0A740D3A
	v_mul_f32_e32 v59, v59, v7                                 // 000000003F50: 0A760F3B
	v_mul_f32_e32 v56, v56, v80                                // 000000003F54: 0A70A138
	v_mul_f32_e32 v57, v57, v81                                // 000000003F58: 0A72A339
	v_mul_f32_e32 v58, v58, v82                                // 000000003F5C: 0A74A53A
	v_mul_f32_e32 v59, v59, v83                                // 000000003F60: 0A76A73B
	v_mul_f32_e64 v4, -v60, s6                                 // 000000003F64: D1050004 20000D3C
	v_mul_f32_e64 v5, -v61, s6                                 // 000000003F6C: D1050005 20000D3D
	v_mul_f32_e64 v6, -v62, s6                                 // 000000003F74: D1050006 20000D3E
	v_mul_f32_e64 v7, -v63, s6                                 // 000000003F7C: D1050007 20000D3F
	v_exp_f32_e32 v4, v4                                       // 000000003F84: 7E084104
	v_exp_f32_e32 v5, v5                                       // 000000003F88: 7E0A4105
	v_exp_f32_e32 v6, v6                                       // 000000003F8C: 7E0C4106
	v_exp_f32_e32 v7, v7                                       // 000000003F90: 7E0E4107
	v_add_f32_e64 v4, v4, 1.0                                  // 000000003F94: D1010004 0001E504
	v_add_f32_e64 v5, v5, 1.0                                  // 000000003F9C: D1010005 0001E505
	v_add_f32_e64 v6, v6, 1.0                                  // 000000003FA4: D1010006 0001E506
	v_add_f32_e64 v7, v7, 1.0                                  // 000000003FAC: D1010007 0001E507
	v_rcp_f32_e32 v4, v4                                       // 000000003FB4: 7E084504
	v_rcp_f32_e32 v5, v5                                       // 000000003FB8: 7E0A4505
	v_rcp_f32_e32 v6, v6                                       // 000000003FBC: 7E0C4506
	v_rcp_f32_e32 v7, v7                                       // 000000003FC0: 7E0E4507
	v_mul_f32_e32 v60, v60, v4                                 // 000000003FC4: 0A78093C
	v_mul_f32_e32 v61, v61, v5                                 // 000000003FC8: 0A7A0B3D
	v_mul_f32_e32 v62, v62, v6                                 // 000000003FCC: 0A7C0D3E
	v_mul_f32_e32 v63, v63, v7                                 // 000000003FD0: 0A7E0F3F
	v_mul_f32_e32 v60, v60, v84                                // 000000003FD4: 0A78A93C
	v_mul_f32_e32 v61, v61, v85                                // 000000003FD8: 0A7AAB3D
	v_mul_f32_e32 v62, v62, v86                                // 000000003FDC: 0A7CAD3E
	v_mul_f32_e32 v63, v63, v87                                // 000000003FE0: 0A7EAF3F
	v_mul_f32_e64 v4, -v64, s6                                 // 000000003FE4: D1050004 20000D40
	v_mul_f32_e64 v5, -v65, s6                                 // 000000003FEC: D1050005 20000D41
	v_mul_f32_e64 v6, -v66, s6                                 // 000000003FF4: D1050006 20000D42
	v_mul_f32_e64 v7, -v67, s6                                 // 000000003FFC: D1050007 20000D43
	v_exp_f32_e32 v4, v4                                       // 000000004004: 7E084104
	v_exp_f32_e32 v5, v5                                       // 000000004008: 7E0A4105
	v_exp_f32_e32 v6, v6                                       // 00000000400C: 7E0C4106
	v_exp_f32_e32 v7, v7                                       // 000000004010: 7E0E4107
	v_add_f32_e64 v4, v4, 1.0                                  // 000000004014: D1010004 0001E504
	v_add_f32_e64 v5, v5, 1.0                                  // 00000000401C: D1010005 0001E505
	v_add_f32_e64 v6, v6, 1.0                                  // 000000004024: D1010006 0001E506
	v_add_f32_e64 v7, v7, 1.0                                  // 00000000402C: D1010007 0001E507
	v_rcp_f32_e32 v4, v4                                       // 000000004034: 7E084504
	v_rcp_f32_e32 v5, v5                                       // 000000004038: 7E0A4505
	v_rcp_f32_e32 v6, v6                                       // 00000000403C: 7E0C4506
	v_rcp_f32_e32 v7, v7                                       // 000000004040: 7E0E4507
	v_mul_f32_e32 v64, v64, v4                                 // 000000004044: 0A800940
	v_mul_f32_e32 v65, v65, v5                                 // 000000004048: 0A820B41
	v_mul_f32_e32 v66, v66, v6                                 // 00000000404C: 0A840D42
	v_mul_f32_e32 v67, v67, v7                                 // 000000004050: 0A860F43
	v_mul_f32_e32 v64, v64, v88                                // 000000004054: 0A80B140
	v_mul_f32_e32 v65, v65, v89                                // 000000004058: 0A82B341
	v_mul_f32_e32 v66, v66, v90                                // 00000000405C: 0A84B542
	v_mul_f32_e32 v67, v67, v91                                // 000000004060: 0A86B743
	v_mul_f32_e64 v4, -v68, s6                                 // 000000004064: D1050004 20000D44
	v_mul_f32_e64 v5, -v69, s6                                 // 00000000406C: D1050005 20000D45
	v_mul_f32_e64 v6, -v70, s6                                 // 000000004074: D1050006 20000D46
	v_mul_f32_e64 v7, -v71, s6                                 // 00000000407C: D1050007 20000D47
	v_exp_f32_e32 v4, v4                                       // 000000004084: 7E084104
	v_exp_f32_e32 v5, v5                                       // 000000004088: 7E0A4105
	v_exp_f32_e32 v6, v6                                       // 00000000408C: 7E0C4106
	v_exp_f32_e32 v7, v7                                       // 000000004090: 7E0E4107
	v_add_f32_e64 v4, v4, 1.0                                  // 000000004094: D1010004 0001E504
	v_add_f32_e64 v5, v5, 1.0                                  // 00000000409C: D1010005 0001E505
	v_add_f32_e64 v6, v6, 1.0                                  // 0000000040A4: D1010006 0001E506
	v_add_f32_e64 v7, v7, 1.0                                  // 0000000040AC: D1010007 0001E507
	v_rcp_f32_e32 v4, v4                                       // 0000000040B4: 7E084504
	v_rcp_f32_e32 v5, v5                                       // 0000000040B8: 7E0A4505
	v_rcp_f32_e32 v6, v6                                       // 0000000040BC: 7E0C4506
	v_rcp_f32_e32 v7, v7                                       // 0000000040C0: 7E0E4507
	v_mul_f32_e32 v68, v68, v4                                 // 0000000040C4: 0A880944
	v_mul_f32_e32 v69, v69, v5                                 // 0000000040C8: 0A8A0B45
	v_mul_f32_e32 v70, v70, v6                                 // 0000000040CC: 0A8C0D46
	v_mul_f32_e32 v71, v71, v7                                 // 0000000040D0: 0A8E0F47
	v_mul_f32_e32 v68, v68, v92                                // 0000000040D4: 0A88B944
	v_mul_f32_e32 v69, v69, v93                                // 0000000040D8: 0A8ABB45
	v_mul_f32_e32 v70, v70, v94                                // 0000000040DC: 0A8CBD46
	v_mul_f32_e32 v71, v71, v95                                // 0000000040E0: 0A8EBF47

00000000000040e4 <label_05B9>:
	v_cmp_u_f32_e64 s[46:47], v48, v48                         // 0000000040E4: D048002E 00026130
	v_add3_u32 v16, v48, v19, 1                                // 0000000040EC: D1FF0010 02062730
	v_cndmask_b32_e64 v4, v16, v18, s[46:47]                   // 0000000040F4: D1000004 00BA2510
	v_cmp_u_f32_e64 s[46:47], v49, v49                         // 0000000040FC: D048002E 00026331
	v_add3_u32 v16, v49, v19, 1                                // 000000004104: D1FF0010 02062731
	v_cndmask_b32_e64 v5, v16, v18, s[46:47]                   // 00000000410C: D1000005 00BA2510
	v_perm_b32 v48, v5, v4, s52                                // 000000004114: D1ED0030 00D20905
	v_cmp_u_f32_e64 s[46:47], v50, v50                         // 00000000411C: D048002E 00026532
	v_add3_u32 v16, v50, v19, 1                                // 000000004124: D1FF0010 02062732
	v_cndmask_b32_e64 v4, v16, v18, s[46:47]                   // 00000000412C: D1000004 00BA2510
	v_cmp_u_f32_e64 s[46:47], v51, v51                         // 000000004134: D048002E 00026733
	v_add3_u32 v16, v51, v19, 1                                // 00000000413C: D1FF0010 02062733
	v_cndmask_b32_e64 v5, v16, v18, s[46:47]                   // 000000004144: D1000005 00BA2510
	v_perm_b32 v49, v5, v4, s52                                // 00000000414C: D1ED0031 00D20905
	v_cmp_u_f32_e64 s[46:47], v52, v52                         // 000000004154: D048002E 00026934
	v_add3_u32 v16, v52, v19, 1                                // 00000000415C: D1FF0010 02062734
	v_cndmask_b32_e64 v4, v16, v18, s[46:47]                   // 000000004164: D1000004 00BA2510
	v_cmp_u_f32_e64 s[46:47], v53, v53                         // 00000000416C: D048002E 00026B35
	v_add3_u32 v16, v53, v19, 1                                // 000000004174: D1FF0010 02062735
	v_cndmask_b32_e64 v5, v16, v18, s[46:47]                   // 00000000417C: D1000005 00BA2510
	v_perm_b32 v50, v5, v4, s52                                // 000000004184: D1ED0032 00D20905
	v_cmp_u_f32_e64 s[46:47], v54, v54                         // 00000000418C: D048002E 00026D36
	v_add3_u32 v16, v54, v19, 1                                // 000000004194: D1FF0010 02062736
	v_cndmask_b32_e64 v4, v16, v18, s[46:47]                   // 00000000419C: D1000004 00BA2510
	v_cmp_u_f32_e64 s[46:47], v55, v55                         // 0000000041A4: D048002E 00026F37
	v_add3_u32 v16, v55, v19, 1                                // 0000000041AC: D1FF0010 02062737
	v_cndmask_b32_e64 v5, v16, v18, s[46:47]                   // 0000000041B4: D1000005 00BA2510
	v_perm_b32 v51, v5, v4, s52                                // 0000000041BC: D1ED0033 00D20905
	v_cmp_u_f32_e64 s[46:47], v56, v56                         // 0000000041C4: D048002E 00027138
	v_add3_u32 v16, v56, v19, 1                                // 0000000041CC: D1FF0010 02062738
	v_cndmask_b32_e64 v4, v16, v18, s[46:47]                   // 0000000041D4: D1000004 00BA2510
	v_cmp_u_f32_e64 s[46:47], v57, v57                         // 0000000041DC: D048002E 00027339
	v_add3_u32 v16, v57, v19, 1                                // 0000000041E4: D1FF0010 02062739
	v_cndmask_b32_e64 v5, v16, v18, s[46:47]                   // 0000000041EC: D1000005 00BA2510
	v_perm_b32 v52, v5, v4, s52                                // 0000000041F4: D1ED0034 00D20905
	v_cmp_u_f32_e64 s[46:47], v58, v58                         // 0000000041FC: D048002E 0002753A
	v_add3_u32 v16, v58, v19, 1                                // 000000004204: D1FF0010 0206273A
	v_cndmask_b32_e64 v4, v16, v18, s[46:47]                   // 00000000420C: D1000004 00BA2510
	v_cmp_u_f32_e64 s[46:47], v59, v59                         // 000000004214: D048002E 0002773B
	v_add3_u32 v16, v59, v19, 1                                // 00000000421C: D1FF0010 0206273B
	v_cndmask_b32_e64 v5, v16, v18, s[46:47]                   // 000000004224: D1000005 00BA2510
	v_perm_b32 v53, v5, v4, s52                                // 00000000422C: D1ED0035 00D20905
	v_cmp_u_f32_e64 s[46:47], v60, v60                         // 000000004234: D048002E 0002793C
	v_add3_u32 v16, v60, v19, 1                                // 00000000423C: D1FF0010 0206273C
	v_cndmask_b32_e64 v4, v16, v18, s[46:47]                   // 000000004244: D1000004 00BA2510
	v_cmp_u_f32_e64 s[46:47], v61, v61                         // 00000000424C: D048002E 00027B3D
	v_add3_u32 v16, v61, v19, 1                                // 000000004254: D1FF0010 0206273D
	v_cndmask_b32_e64 v5, v16, v18, s[46:47]                   // 00000000425C: D1000005 00BA2510
	v_perm_b32 v54, v5, v4, s52                                // 000000004264: D1ED0036 00D20905
	v_cmp_u_f32_e64 s[46:47], v62, v62                         // 00000000426C: D048002E 00027D3E
	v_add3_u32 v16, v62, v19, 1                                // 000000004274: D1FF0010 0206273E
	v_cndmask_b32_e64 v4, v16, v18, s[46:47]                   // 00000000427C: D1000004 00BA2510
	v_cmp_u_f32_e64 s[46:47], v63, v63                         // 000000004284: D048002E 00027F3F
	v_add3_u32 v16, v63, v19, 1                                // 00000000428C: D1FF0010 0206273F
	v_cndmask_b32_e64 v5, v16, v18, s[46:47]                   // 000000004294: D1000005 00BA2510
	v_perm_b32 v55, v5, v4, s52                                // 00000000429C: D1ED0037 00D20905
	v_cmp_u_f32_e64 s[46:47], v64, v64                         // 0000000042A4: D048002E 00028140
	v_add3_u32 v16, v64, v19, 1                                // 0000000042AC: D1FF0010 02062740
	v_cndmask_b32_e64 v4, v16, v18, s[46:47]                   // 0000000042B4: D1000004 00BA2510
	v_cmp_u_f32_e64 s[46:47], v65, v65                         // 0000000042BC: D048002E 00028341
	v_add3_u32 v16, v65, v19, 1                                // 0000000042C4: D1FF0010 02062741
	v_cndmask_b32_e64 v5, v16, v18, s[46:47]                   // 0000000042CC: D1000005 00BA2510
	v_perm_b32 v56, v5, v4, s52                                // 0000000042D4: D1ED0038 00D20905
	v_cmp_u_f32_e64 s[46:47], v66, v66                         // 0000000042DC: D048002E 00028542
	v_add3_u32 v16, v66, v19, 1                                // 0000000042E4: D1FF0010 02062742
	v_cndmask_b32_e64 v4, v16, v18, s[46:47]                   // 0000000042EC: D1000004 00BA2510
	v_cmp_u_f32_e64 s[46:47], v67, v67                         // 0000000042F4: D048002E 00028743
	v_add3_u32 v16, v67, v19, 1                                // 0000000042FC: D1FF0010 02062743
	v_cndmask_b32_e64 v5, v16, v18, s[46:47]                   // 000000004304: D1000005 00BA2510
	v_perm_b32 v57, v5, v4, s52                                // 00000000430C: D1ED0039 00D20905
	v_cmp_u_f32_e64 s[46:47], v68, v68                         // 000000004314: D048002E 00028944
	v_add3_u32 v16, v68, v19, 1                                // 00000000431C: D1FF0010 02062744
	v_cndmask_b32_e64 v4, v16, v18, s[46:47]                   // 000000004324: D1000004 00BA2510
	v_cmp_u_f32_e64 s[46:47], v69, v69                         // 00000000432C: D048002E 00028B45
	v_add3_u32 v16, v69, v19, 1                                // 000000004334: D1FF0010 02062745
	v_cndmask_b32_e64 v5, v16, v18, s[46:47]                   // 00000000433C: D1000005 00BA2510
	v_perm_b32 v58, v5, v4, s52                                // 000000004344: D1ED003A 00D20905
	v_cmp_u_f32_e64 s[46:47], v70, v70                         // 00000000434C: D048002E 00028D46
	v_add3_u32 v16, v70, v19, 1                                // 000000004354: D1FF0010 02062746
	v_cndmask_b32_e64 v4, v16, v18, s[46:47]                   // 00000000435C: D1000004 00BA2510
	v_cmp_u_f32_e64 s[46:47], v71, v71                         // 000000004364: D048002E 00028F47
	v_add3_u32 v16, v71, v19, 1                                // 00000000436C: D1FF0010 02062747
	v_cndmask_b32_e64 v5, v16, v18, s[46:47]                   // 000000004374: D1000005 00BA2510
	v_perm_b32 v59, v5, v4, s52                                // 00000000437C: D1ED003B 00D20905
	ds_write_b64 v20, v[48:49]                                 // 000000004384: D89A0000 00003014
	ds_write_b64 v20, v[50:51] offset:4352                     // 00000000438C: D89A1100 00003214
	ds_write_b64 v20, v[52:53] offset:8704                     // 000000004394: D89A2200 00003414
	ds_write_b64 v20, v[54:55] offset:2176                     // 00000000439C: D89A0880 00003614
	ds_write_b64 v20, v[56:57] offset:6528                     // 0000000043A4: D89A1980 00003814
	ds_write_b64 v20, v[58:59] offset:10880                    // 0000000043AC: D89A2A80 00003A14
	v_lshrrev_b32_e32 v4, 5, v0                                // 0000000043B4: 20080085
	v_xor_b32_e32 v5, 1, v4                                    // 0000000043B8: 2A0A0881
	s_mul_i32 s60, s65, 2                                      // 0000000043BC: 923C8241
	s_cmp_eq_u32 s88, 0                                        // 0000000043C0: BF068058
	s_cselect_b32 s61, 1, 4                                    // 0000000043C4: 853D8481
	s_mul_i32 s60, s61, s60                                    // 0000000043C8: 923C3C3D
	v_readlane_b32 s82, v3, 0                                  // 0000000043CC: D2890052 00010103
	s_lshr_b32 s61, s82, 24                                    // 0000000043D4: 8F3D9852
	s_and_b32 s82, s82, 0xffffff                               // 0000000043D8: 8652FF52 00FFFFFF
	s_mul_i32 s82, s82, s71                                    // 0000000043E0: 92524752
	s_mul_i32 s61, s60, s61                                    // 0000000043E4: 923D3D3C
	s_add_u32 s82, s82, s61                                    // 0000000043E8: 80523D52
	v_mul_lo_u32 v6, v5, s82                                   // 0000000043EC: D2850006 0000A505
	v_readlane_b32 s82, v3, 1                                  // 0000000043F4: D2890052 00010303
	s_lshr_b32 s61, s82, 24                                    // 0000000043FC: 8F3D9852
	s_and_b32 s82, s82, 0xffffff                               // 000000004400: 8652FF52 00FFFFFF
	s_mul_i32 s82, s82, s71                                    // 000000004408: 92524752
	s_mul_i32 s61, s60, s61                                    // 00000000440C: 923D3D3C
	s_add_u32 s82, s82, s61                                    // 000000004410: 80523D52
	v_mul_lo_u32 v7, v4, s82                                   // 000000004414: D2850007 0000A504
	v_add_u32_e32 v40, v6, v7                                  // 00000000441C: 68500F06
	v_readlane_b32 s82, v3, 2                                  // 000000004420: D2890052 00010503
	s_lshr_b32 s61, s82, 24                                    // 000000004428: 8F3D9852
	s_and_b32 s82, s82, 0xffffff                               // 00000000442C: 8652FF52 00FFFFFF
	s_mul_i32 s82, s82, s71                                    // 000000004434: 92524752
	s_mul_i32 s61, s60, s61                                    // 000000004438: 923D3D3C
	s_add_u32 s82, s82, s61                                    // 00000000443C: 80523D52
	v_mul_lo_u32 v6, v5, s82                                   // 000000004440: D2850006 0000A505
	v_readlane_b32 s82, v3, 3                                  // 000000004448: D2890052 00010703
	s_lshr_b32 s61, s82, 24                                    // 000000004450: 8F3D9852
	s_and_b32 s82, s82, 0xffffff                               // 000000004454: 8652FF52 00FFFFFF
	s_mul_i32 s82, s82, s71                                    // 00000000445C: 92524752
	s_mul_i32 s61, s60, s61                                    // 000000004460: 923D3D3C
	s_add_u32 s82, s82, s61                                    // 000000004464: 80523D52
	v_mul_lo_u32 v7, v4, s82                                   // 000000004468: D2850007 0000A504
	v_add_u32_e32 v41, v6, v7                                  // 000000004470: 68520F06
	v_readlane_b32 s82, v3, 4                                  // 000000004474: D2890052 00010903
	s_lshr_b32 s61, s82, 24                                    // 00000000447C: 8F3D9852
	s_and_b32 s82, s82, 0xffffff                               // 000000004480: 8652FF52 00FFFFFF
	s_mul_i32 s82, s82, s71                                    // 000000004488: 92524752
	s_mul_i32 s61, s60, s61                                    // 00000000448C: 923D3D3C
	s_add_u32 s82, s82, s61                                    // 000000004490: 80523D52
	v_mul_lo_u32 v6, v5, s82                                   // 000000004494: D2850006 0000A505
	v_readlane_b32 s82, v3, 5                                  // 00000000449C: D2890052 00010B03
	s_lshr_b32 s61, s82, 24                                    // 0000000044A4: 8F3D9852
	s_and_b32 s82, s82, 0xffffff                               // 0000000044A8: 8652FF52 00FFFFFF
	s_mul_i32 s82, s82, s71                                    // 0000000044B0: 92524752
	s_mul_i32 s61, s60, s61                                    // 0000000044B4: 923D3D3C
	s_add_u32 s82, s82, s61                                    // 0000000044B8: 80523D52
	v_mul_lo_u32 v7, v4, s82                                   // 0000000044BC: D2850007 0000A504
	v_add_u32_e32 v42, v6, v7                                  // 0000000044C4: 68540F06
	v_readlane_b32 s82, v3, 6                                  // 0000000044C8: D2890052 00010D03
	s_lshr_b32 s61, s82, 24                                    // 0000000044D0: 8F3D9852
	s_and_b32 s82, s82, 0xffffff                               // 0000000044D4: 8652FF52 00FFFFFF
	s_mul_i32 s82, s82, s71                                    // 0000000044DC: 92524752
	s_mul_i32 s61, s60, s61                                    // 0000000044E0: 923D3D3C
	s_add_u32 s82, s82, s61                                    // 0000000044E4: 80523D52
	v_mul_lo_u32 v6, v5, s82                                   // 0000000044E8: D2850006 0000A505
	v_readlane_b32 s82, v3, 7                                  // 0000000044F0: D2890052 00010F03
	s_lshr_b32 s61, s82, 24                                    // 0000000044F8: 8F3D9852
	s_and_b32 s82, s82, 0xffffff                               // 0000000044FC: 8652FF52 00FFFFFF
	s_mul_i32 s82, s82, s71                                    // 000000004504: 92524752
	s_mul_i32 s61, s60, s61                                    // 000000004508: 923D3D3C
	s_add_u32 s82, s82, s61                                    // 00000000450C: 80523D52
	v_mul_lo_u32 v7, v4, s82                                   // 000000004510: D2850007 0000A504
	v_add_u32_e32 v43, v6, v7                                  // 000000004518: 68560F06
	v_readlane_b32 s82, v3, 8                                  // 00000000451C: D2890052 00011103
	s_lshr_b32 s61, s82, 24                                    // 000000004524: 8F3D9852
	s_and_b32 s82, s82, 0xffffff                               // 000000004528: 8652FF52 00FFFFFF
	s_mul_i32 s82, s82, s71                                    // 000000004530: 92524752
	s_mul_i32 s61, s60, s61                                    // 000000004534: 923D3D3C
	s_add_u32 s82, s82, s61                                    // 000000004538: 80523D52
	v_mul_lo_u32 v6, v5, s82                                   // 00000000453C: D2850006 0000A505
	v_readlane_b32 s82, v3, 9                                  // 000000004544: D2890052 00011303
	s_lshr_b32 s61, s82, 24                                    // 00000000454C: 8F3D9852
	s_and_b32 s82, s82, 0xffffff                               // 000000004550: 8652FF52 00FFFFFF
	s_mul_i32 s82, s82, s71                                    // 000000004558: 92524752
	s_mul_i32 s61, s60, s61                                    // 00000000455C: 923D3D3C
	s_add_u32 s82, s82, s61                                    // 000000004560: 80523D52
	v_mul_lo_u32 v7, v4, s82                                   // 000000004564: D2850007 0000A504
	v_add_u32_e32 v44, v6, v7                                  // 00000000456C: 68580F06
	v_readlane_b32 s82, v3, 10                                 // 000000004570: D2890052 00011503
	s_lshr_b32 s61, s82, 24                                    // 000000004578: 8F3D9852
	s_and_b32 s82, s82, 0xffffff                               // 00000000457C: 8652FF52 00FFFFFF
	s_mul_i32 s82, s82, s71                                    // 000000004584: 92524752
	s_mul_i32 s61, s60, s61                                    // 000000004588: 923D3D3C
	s_add_u32 s82, s82, s61                                    // 00000000458C: 80523D52
	v_mul_lo_u32 v6, v5, s82                                   // 000000004590: D2850006 0000A505
	v_readlane_b32 s82, v3, 11                                 // 000000004598: D2890052 00011703
	s_lshr_b32 s61, s82, 24                                    // 0000000045A0: 8F3D9852
	s_and_b32 s82, s82, 0xffffff                               // 0000000045A4: 8652FF52 00FFFFFF
	s_mul_i32 s82, s82, s71                                    // 0000000045AC: 92524752
	s_mul_i32 s61, s60, s61                                    // 0000000045B0: 923D3D3C
	s_add_u32 s82, s82, s61                                    // 0000000045B4: 80523D52
	v_mul_lo_u32 v7, v4, s82                                   // 0000000045B8: D2850007 0000A504
	v_add_u32_e32 v45, v6, v7                                  // 0000000045C0: 685A0F06
	v_and_b32_e32 v4, 31, v0                                   // 0000000045C4: 2608009F
	v_lshrrev_b32_e32 v4, 1, v4                                // 0000000045C8: 20080881
	s_cmp_eq_u32 s88, 0                                        // 0000000045CC: BF068058
	s_cselect_b32 s61, 2, 4                                    // 0000000045D0: 853D8482
	v_mul_lo_u32 v4, v4, s61                                   // 0000000045D4: D2850004 00007B04
	v_and_b32_e64 v5, v0, 1                                    // 0000000045DC: D1130005 00010300
	v_add_u32_e32 v4, v4, v5                                   // 0000000045E4: 68080B04
	v_lshlrev_b32_e32 v4, 2, v4                                // 0000000045E8: 24080882
	v_add_u32_e32 v40, v40, v4                                 // 0000000045EC: 68500928
	v_add_u32_e32 v41, v41, v4                                 // 0000000045F0: 68520929
	v_add_u32_e32 v42, v42, v4                                 // 0000000045F4: 6854092A
	v_add_u32_e32 v43, v43, v4                                 // 0000000045F8: 6856092B
	v_add_u32_e32 v44, v44, v4                                 // 0000000045FC: 6858092C
	v_add_u32_e32 v45, v45, v4                                 // 000000004600: 685A092D
	s_waitcnt lgkmcnt(0)                                       // 000000004604: BF8CC07F
	s_barrier                                                  // 000000004608: BF8A0000
	ds_read_b32 v48, v21                                       // 00000000460C: D86C0000 30000015
	ds_read_b32 v49, v21 offset:64                             // 000000004614: D86C0040 31000015
	ds_read_b32 v50, v21 offset:2176                           // 00000000461C: D86C0880 32000015
	ds_read_b32 v51, v21 offset:2240                           // 000000004624: D86C08C0 33000015
	ds_read_b32 v52, v21 offset:4352                           // 00000000462C: D86C1100 34000015
	ds_read_b32 v53, v21 offset:4416                           // 000000004634: D86C1140 35000015
	ds_read_b32 v54, v21 offset:6528                           // 00000000463C: D86C1980 36000015
	ds_read_b32 v55, v21 offset:6592                           // 000000004644: D86C19C0 37000015
	ds_read_b32 v56, v21 offset:8704                           // 00000000464C: D86C2200 38000015
	ds_read_b32 v57, v21 offset:8768                           // 000000004654: D86C2240 39000015
	ds_read_b32 v58, v21 offset:10880                          // 00000000465C: D86C2A80 3A000015
	ds_read_b32 v59, v21 offset:10944                          // 000000004664: D86C2AC0 3B000015
	s_waitcnt lgkmcnt(0)                                       // 00000000466C: BF8CC07F
	s_mov_b32 s36, -1                                          // 000000004670: BEA400C1
	s_mov_b32 s37, -1                                          // 000000004674: BEA500C1
	v_mov_b32_e32 v7, 0                                        // 000000004678: 7E0E0280
	s_or_b32 s9, s9, 0x40000                                   // 00000000467C: 8709FF09 00040000
	s_mov_b64 exec, s[36:37]                                   // 000000004684: BEFE0124
	v_mov_b32_e32 v6, v40                                      // 000000004688: 7E0C0328
	s_mov_b64 s[60:61], 0                                      // 00000000468C: BEBC0180
	v_readlane_b32 s82, v3, 0                                  // 000000004690: D2890052 00010103
	s_and_b32 s82, s82, 0xffffff                               // 000000004698: 8652FF52 00FFFFFF
	s_cmp_lt_u32 s82, s66                                      // 0000000046A0: BF0A4252
	s_cselect_b32 s20, s36, s60                                // 0000000046A4: 85143C24
	v_readlane_b32 s82, v3, 1                                  // 0000000046A8: D2890052 00010303
	s_and_b32 s82, s82, 0xffffff                               // 0000000046B0: 8652FF52 00FFFFFF
	s_cmp_lt_u32 s82, s66                                      // 0000000046B8: BF0A4252
	s_cselect_b32 s21, s36, s60                                // 0000000046BC: 85153C24
	s_mov_b64 exec, s[20:21]                                   // 0000000046C0: BEFE0114
	buffer_store_dword v48, v6, s[8:11], 0 offen               // 0000000046C4: E0701000 80023006
	buffer_store_dword v50, v6, s[8:11], 0 offen offset:128    // 0000000046CC: E0701080 80023206
	s_mov_b64 exec, s[36:37]                                   // 0000000046D4: BEFE0124
	v_mov_b32_e32 v6, v41                                      // 0000000046D8: 7E0C0329
	s_mov_b64 s[60:61], 0                                      // 0000000046DC: BEBC0180
	v_readlane_b32 s82, v3, 2                                  // 0000000046E0: D2890052 00010503
	s_and_b32 s82, s82, 0xffffff                               // 0000000046E8: 8652FF52 00FFFFFF
	s_cmp_lt_u32 s82, s66                                      // 0000000046F0: BF0A4252
	s_cselect_b32 s20, s36, s60                                // 0000000046F4: 85143C24
	v_readlane_b32 s82, v3, 3                                  // 0000000046F8: D2890052 00010703
	s_and_b32 s82, s82, 0xffffff                               // 000000004700: 8652FF52 00FFFFFF
	s_cmp_lt_u32 s82, s66                                      // 000000004708: BF0A4252
	s_cselect_b32 s21, s36, s60                                // 00000000470C: 85153C24
	s_mov_b64 exec, s[20:21]                                   // 000000004710: BEFE0114
	buffer_store_dword v49, v6, s[8:11], 0 offen               // 000000004714: E0701000 80023106
	buffer_store_dword v51, v6, s[8:11], 0 offen offset:128    // 00000000471C: E0701080 80023306
	s_mov_b64 exec, s[36:37]                                   // 000000004724: BEFE0124
	v_mov_b32_e32 v6, v42                                      // 000000004728: 7E0C032A
	s_mov_b64 s[60:61], 0                                      // 00000000472C: BEBC0180
	v_readlane_b32 s82, v3, 4                                  // 000000004730: D2890052 00010903
	s_and_b32 s82, s82, 0xffffff                               // 000000004738: 8652FF52 00FFFFFF
	s_cmp_lt_u32 s82, s66                                      // 000000004740: BF0A4252
	s_cselect_b32 s20, s36, s60                                // 000000004744: 85143C24
	v_readlane_b32 s82, v3, 5                                  // 000000004748: D2890052 00010B03
	s_and_b32 s82, s82, 0xffffff                               // 000000004750: 8652FF52 00FFFFFF
	s_cmp_lt_u32 s82, s66                                      // 000000004758: BF0A4252
	s_cselect_b32 s21, s36, s60                                // 00000000475C: 85153C24
	s_mov_b64 exec, s[20:21]                                   // 000000004760: BEFE0114
	buffer_store_dword v52, v6, s[8:11], 0 offen               // 000000004764: E0701000 80023406
	buffer_store_dword v54, v6, s[8:11], 0 offen offset:128    // 00000000476C: E0701080 80023606
	s_mov_b64 exec, s[36:37]                                   // 000000004774: BEFE0124
	v_mov_b32_e32 v6, v43                                      // 000000004778: 7E0C032B
	s_mov_b64 s[60:61], 0                                      // 00000000477C: BEBC0180
	v_readlane_b32 s82, v3, 6                                  // 000000004780: D2890052 00010D03
	s_and_b32 s82, s82, 0xffffff                               // 000000004788: 8652FF52 00FFFFFF
	s_cmp_lt_u32 s82, s66                                      // 000000004790: BF0A4252
	s_cselect_b32 s20, s36, s60                                // 000000004794: 85143C24
	v_readlane_b32 s82, v3, 7                                  // 000000004798: D2890052 00010F03
	s_and_b32 s82, s82, 0xffffff                               // 0000000047A0: 8652FF52 00FFFFFF
	s_cmp_lt_u32 s82, s66                                      // 0000000047A8: BF0A4252
	s_cselect_b32 s21, s36, s60                                // 0000000047AC: 85153C24
	s_mov_b64 exec, s[20:21]                                   // 0000000047B0: BEFE0114
	buffer_store_dword v53, v6, s[8:11], 0 offen               // 0000000047B4: E0701000 80023506
	buffer_store_dword v55, v6, s[8:11], 0 offen offset:128    // 0000000047BC: E0701080 80023706
	s_mov_b64 exec, s[36:37]                                   // 0000000047C4: BEFE0124
	v_mov_b32_e32 v6, v44                                      // 0000000047C8: 7E0C032C
	s_mov_b64 s[60:61], 0                                      // 0000000047CC: BEBC0180
	v_readlane_b32 s82, v3, 8                                  // 0000000047D0: D2890052 00011103
	s_and_b32 s82, s82, 0xffffff                               // 0000000047D8: 8652FF52 00FFFFFF
	s_cmp_lt_u32 s82, s66                                      // 0000000047E0: BF0A4252
	s_cselect_b32 s20, s36, s60                                // 0000000047E4: 85143C24
	v_readlane_b32 s82, v3, 9                                  // 0000000047E8: D2890052 00011303
	s_and_b32 s82, s82, 0xffffff                               // 0000000047F0: 8652FF52 00FFFFFF
	s_cmp_lt_u32 s82, s66                                      // 0000000047F8: BF0A4252
	s_cselect_b32 s21, s36, s60                                // 0000000047FC: 85153C24
	s_mov_b64 exec, s[20:21]                                   // 000000004800: BEFE0114
	buffer_store_dword v56, v6, s[8:11], 0 offen               // 000000004804: E0701000 80023806
	buffer_store_dword v58, v6, s[8:11], 0 offen offset:128    // 00000000480C: E0701080 80023A06
	s_mov_b64 exec, s[36:37]                                   // 000000004814: BEFE0124
	v_mov_b32_e32 v6, v45                                      // 000000004818: 7E0C032D
	s_mov_b64 s[60:61], 0                                      // 00000000481C: BEBC0180
	v_readlane_b32 s82, v3, 10                                 // 000000004820: D2890052 00011503
	s_and_b32 s82, s82, 0xffffff                               // 000000004828: 8652FF52 00FFFFFF
	s_cmp_lt_u32 s82, s66                                      // 000000004830: BF0A4252
	s_cselect_b32 s20, s36, s60                                // 000000004834: 85143C24
	v_readlane_b32 s82, v3, 11                                 // 000000004838: D2890052 00011703
	s_and_b32 s82, s82, 0xffffff                               // 000000004840: 8652FF52 00FFFFFF
	s_cmp_lt_u32 s82, s66                                      // 000000004848: BF0A4252
	s_cselect_b32 s21, s36, s60                                // 00000000484C: 85153C24
	s_mov_b64 exec, s[20:21]                                   // 000000004850: BEFE0114
	buffer_store_dword v57, v6, s[8:11], 0 offen               // 000000004854: E0701000 80023906
	buffer_store_dword v59, v6, s[8:11], 0 offen offset:128    // 00000000485C: E0701080 80023B06
	s_mov_b64 exec, s[36:37]                                   // 000000004864: BEFE0124
	s_branch label_1364                                        // 000000004868: BF820BC6

000000000000486c <label_079B>:
	ds_write_b64 v20, v[48:49]                                 // 00000000486C: D89A0000 00003014
	ds_write_b64 v20, v[52:53] offset:4352                     // 000000004874: D89A1100 00003414
	ds_write_b64 v20, v[56:57] offset:8704                     // 00000000487C: D89A2200 00003814
	ds_write_b64 v20, v[60:61] offset:2176                     // 000000004884: D89A0880 00003C14
	ds_write_b64 v20, v[64:65] offset:6528                     // 00000000488C: D89A1980 00004014
	ds_write_b64 v20, v[68:69] offset:10880                    // 000000004894: D89A2A80 00004414
	v_lshrrev_b32_e32 v4, 5, v0                                // 00000000489C: 20080085
	v_xor_b32_e32 v5, 1, v4                                    // 0000000048A0: 2A0A0881
	s_mul_i32 s60, s65, 2                                      // 0000000048A4: 923C8241
	s_cmp_eq_u32 s88, 0                                        // 0000000048A8: BF068058
	s_cselect_b32 s61, 1, 4                                    // 0000000048AC: 853D8481
	s_mul_i32 s60, s61, s60                                    // 0000000048B0: 923C3C3D
	v_readlane_b32 s82, v3, 0                                  // 0000000048B4: D2890052 00010103
	s_lshr_b32 s61, s82, 24                                    // 0000000048BC: 8F3D9852
	s_and_b32 s82, s82, 0xffffff                               // 0000000048C0: 8652FF52 00FFFFFF
	s_mul_i32 s82, s82, s71                                    // 0000000048C8: 92524752
	s_mul_i32 s61, s60, s61                                    // 0000000048CC: 923D3D3C
	s_add_u32 s82, s82, s61                                    // 0000000048D0: 80523D52
	v_mul_lo_u32 v6, v5, s82                                   // 0000000048D4: D2850006 0000A505
	v_readlane_b32 s82, v3, 1                                  // 0000000048DC: D2890052 00010303
	s_lshr_b32 s61, s82, 24                                    // 0000000048E4: 8F3D9852
	s_and_b32 s82, s82, 0xffffff                               // 0000000048E8: 8652FF52 00FFFFFF
	s_mul_i32 s82, s82, s71                                    // 0000000048F0: 92524752
	s_mul_i32 s61, s60, s61                                    // 0000000048F4: 923D3D3C
	s_add_u32 s82, s82, s61                                    // 0000000048F8: 80523D52
	v_mul_lo_u32 v7, v4, s82                                   // 0000000048FC: D2850007 0000A504
	v_add_u32_e32 v40, v6, v7                                  // 000000004904: 68500F06
	v_readlane_b32 s82, v3, 2                                  // 000000004908: D2890052 00010503
	s_lshr_b32 s61, s82, 24                                    // 000000004910: 8F3D9852
	s_and_b32 s82, s82, 0xffffff                               // 000000004914: 8652FF52 00FFFFFF
	s_mul_i32 s82, s82, s71                                    // 00000000491C: 92524752
	s_mul_i32 s61, s60, s61                                    // 000000004920: 923D3D3C
	s_add_u32 s82, s82, s61                                    // 000000004924: 80523D52
	v_mul_lo_u32 v6, v5, s82                                   // 000000004928: D2850006 0000A505
	v_readlane_b32 s82, v3, 3                                  // 000000004930: D2890052 00010703
	s_lshr_b32 s61, s82, 24                                    // 000000004938: 8F3D9852
	s_and_b32 s82, s82, 0xffffff                               // 00000000493C: 8652FF52 00FFFFFF
	s_mul_i32 s82, s82, s71                                    // 000000004944: 92524752
	s_mul_i32 s61, s60, s61                                    // 000000004948: 923D3D3C
	s_add_u32 s82, s82, s61                                    // 00000000494C: 80523D52
	v_mul_lo_u32 v7, v4, s82                                   // 000000004950: D2850007 0000A504
	v_add_u32_e32 v41, v6, v7                                  // 000000004958: 68520F06
	v_readlane_b32 s82, v3, 4                                  // 00000000495C: D2890052 00010903
	s_lshr_b32 s61, s82, 24                                    // 000000004964: 8F3D9852
	s_and_b32 s82, s82, 0xffffff                               // 000000004968: 8652FF52 00FFFFFF
	s_mul_i32 s82, s82, s71                                    // 000000004970: 92524752
	s_mul_i32 s61, s60, s61                                    // 000000004974: 923D3D3C
	s_add_u32 s82, s82, s61                                    // 000000004978: 80523D52
	v_mul_lo_u32 v6, v5, s82                                   // 00000000497C: D2850006 0000A505
	v_readlane_b32 s82, v3, 5                                  // 000000004984: D2890052 00010B03
	s_lshr_b32 s61, s82, 24                                    // 00000000498C: 8F3D9852
	s_and_b32 s82, s82, 0xffffff                               // 000000004990: 8652FF52 00FFFFFF
	s_mul_i32 s82, s82, s71                                    // 000000004998: 92524752
	s_mul_i32 s61, s60, s61                                    // 00000000499C: 923D3D3C
	s_add_u32 s82, s82, s61                                    // 0000000049A0: 80523D52
	v_mul_lo_u32 v7, v4, s82                                   // 0000000049A4: D2850007 0000A504
	v_add_u32_e32 v42, v6, v7                                  // 0000000049AC: 68540F06
	v_readlane_b32 s82, v3, 6                                  // 0000000049B0: D2890052 00010D03
	s_lshr_b32 s61, s82, 24                                    // 0000000049B8: 8F3D9852
	s_and_b32 s82, s82, 0xffffff                               // 0000000049BC: 8652FF52 00FFFFFF
	s_mul_i32 s82, s82, s71                                    // 0000000049C4: 92524752
	s_mul_i32 s61, s60, s61                                    // 0000000049C8: 923D3D3C
	s_add_u32 s82, s82, s61                                    // 0000000049CC: 80523D52
	v_mul_lo_u32 v6, v5, s82                                   // 0000000049D0: D2850006 0000A505
	v_readlane_b32 s82, v3, 7                                  // 0000000049D8: D2890052 00010F03
	s_lshr_b32 s61, s82, 24                                    // 0000000049E0: 8F3D9852
	s_and_b32 s82, s82, 0xffffff                               // 0000000049E4: 8652FF52 00FFFFFF
	s_mul_i32 s82, s82, s71                                    // 0000000049EC: 92524752
	s_mul_i32 s61, s60, s61                                    // 0000000049F0: 923D3D3C
	s_add_u32 s82, s82, s61                                    // 0000000049F4: 80523D52
	v_mul_lo_u32 v7, v4, s82                                   // 0000000049F8: D2850007 0000A504
	v_add_u32_e32 v43, v6, v7                                  // 000000004A00: 68560F06
	v_readlane_b32 s82, v3, 8                                  // 000000004A04: D2890052 00011103
	s_lshr_b32 s61, s82, 24                                    // 000000004A0C: 8F3D9852
	s_and_b32 s82, s82, 0xffffff                               // 000000004A10: 8652FF52 00FFFFFF
	s_mul_i32 s82, s82, s71                                    // 000000004A18: 92524752
	s_mul_i32 s61, s60, s61                                    // 000000004A1C: 923D3D3C
	s_add_u32 s82, s82, s61                                    // 000000004A20: 80523D52
	v_mul_lo_u32 v6, v5, s82                                   // 000000004A24: D2850006 0000A505
	v_readlane_b32 s82, v3, 9                                  // 000000004A2C: D2890052 00011303
	s_lshr_b32 s61, s82, 24                                    // 000000004A34: 8F3D9852
	s_and_b32 s82, s82, 0xffffff                               // 000000004A38: 8652FF52 00FFFFFF
	s_mul_i32 s82, s82, s71                                    // 000000004A40: 92524752
	s_mul_i32 s61, s60, s61                                    // 000000004A44: 923D3D3C
	s_add_u32 s82, s82, s61                                    // 000000004A48: 80523D52
	v_mul_lo_u32 v7, v4, s82                                   // 000000004A4C: D2850007 0000A504
	v_add_u32_e32 v44, v6, v7                                  // 000000004A54: 68580F06
	v_readlane_b32 s82, v3, 10                                 // 000000004A58: D2890052 00011503
	s_lshr_b32 s61, s82, 24                                    // 000000004A60: 8F3D9852
	s_and_b32 s82, s82, 0xffffff                               // 000000004A64: 8652FF52 00FFFFFF
	s_mul_i32 s82, s82, s71                                    // 000000004A6C: 92524752
	s_mul_i32 s61, s60, s61                                    // 000000004A70: 923D3D3C
	s_add_u32 s82, s82, s61                                    // 000000004A74: 80523D52
	v_mul_lo_u32 v6, v5, s82                                   // 000000004A78: D2850006 0000A505
	v_readlane_b32 s82, v3, 11                                 // 000000004A80: D2890052 00011703
	s_lshr_b32 s61, s82, 24                                    // 000000004A88: 8F3D9852
	s_and_b32 s82, s82, 0xffffff                               // 000000004A8C: 8652FF52 00FFFFFF
	s_mul_i32 s82, s82, s71                                    // 000000004A94: 92524752
	s_mul_i32 s61, s60, s61                                    // 000000004A98: 923D3D3C
	s_add_u32 s82, s82, s61                                    // 000000004A9C: 80523D52
	v_mul_lo_u32 v7, v4, s82                                   // 000000004AA0: D2850007 0000A504
	v_add_u32_e32 v45, v6, v7                                  // 000000004AA8: 685A0F06
	v_and_b32_e32 v4, 31, v0                                   // 000000004AAC: 2608009F
	v_lshrrev_b32_e32 v4, 1, v4                                // 000000004AB0: 20080881
	s_cmp_eq_u32 s88, 0                                        // 000000004AB4: BF068058
	s_cselect_b32 s61, 2, 4                                    // 000000004AB8: 853D8482
	v_mul_lo_u32 v4, v4, s61                                   // 000000004ABC: D2850004 00007B04
	v_and_b32_e64 v5, v0, 1                                    // 000000004AC4: D1130005 00010300
	v_add_u32_e32 v4, v4, v5                                   // 000000004ACC: 68080B04
	v_lshlrev_b32_e32 v4, 2, v4                                // 000000004AD0: 24080882
	v_add_u32_e32 v40, v40, v4                                 // 000000004AD4: 68500928
	v_add_u32_e32 v41, v41, v4                                 // 000000004AD8: 68520929
	v_add_u32_e32 v42, v42, v4                                 // 000000004ADC: 6854092A
	v_add_u32_e32 v43, v43, v4                                 // 000000004AE0: 6856092B
	v_add_u32_e32 v44, v44, v4                                 // 000000004AE4: 6858092C
	v_add_u32_e32 v45, v45, v4                                 // 000000004AE8: 685A092D
	s_waitcnt lgkmcnt(0)                                       // 000000004AEC: BF8CC07F
	s_barrier                                                  // 000000004AF0: BF8A0000
	ds_read_b32 v48, v21                                       // 000000004AF4: D86C0000 30000015
	ds_read_b32 v49, v21 offset:64                             // 000000004AFC: D86C0040 31000015
	ds_read_b32 v52, v21 offset:2176                           // 000000004B04: D86C0880 34000015
	ds_read_b32 v53, v21 offset:2240                           // 000000004B0C: D86C08C0 35000015
	ds_read_b32 v56, v21 offset:4352                           // 000000004B14: D86C1100 38000015
	ds_read_b32 v57, v21 offset:4416                           // 000000004B1C: D86C1140 39000015
	ds_read_b32 v60, v21 offset:6528                           // 000000004B24: D86C1980 3C000015
	ds_read_b32 v61, v21 offset:6592                           // 000000004B2C: D86C19C0 3D000015
	ds_read_b32 v64, v21 offset:8704                           // 000000004B34: D86C2200 40000015
	ds_read_b32 v65, v21 offset:8768                           // 000000004B3C: D86C2240 41000015
	ds_read_b32 v68, v21 offset:10880                          // 000000004B44: D86C2A80 44000015
	ds_read_b32 v69, v21 offset:10944                          // 000000004B4C: D86C2AC0 45000015
	s_waitcnt lgkmcnt(0)                                       // 000000004B54: BF8CC07F
	s_mov_b32 s36, -1                                          // 000000004B58: BEA400C1
	s_mov_b32 s37, -1                                          // 000000004B5C: BEA500C1
	v_mov_b32_e32 v7, 0                                        // 000000004B60: 7E0E0280
	s_mov_b64 exec, s[36:37]                                   // 000000004B64: BEFE0124
	v_mov_b32_e32 v6, v40                                      // 000000004B68: 7E0C0328
	s_mov_b64 s[60:61], 0                                      // 000000004B6C: BEBC0180
	v_readlane_b32 s82, v3, 0                                  // 000000004B70: D2890052 00010103
	s_and_b32 s82, s82, 0xffffff                               // 000000004B78: 8652FF52 00FFFFFF
	s_cmp_lt_u32 s82, s66                                      // 000000004B80: BF0A4252
	s_cselect_b32 s20, s36, s60                                // 000000004B84: 85143C24
	v_readlane_b32 s82, v3, 1                                  // 000000004B88: D2890052 00010303
	s_and_b32 s82, s82, 0xffffff                               // 000000004B90: 8652FF52 00FFFFFF
	s_cmp_lt_u32 s82, s66                                      // 000000004B98: BF0A4252
	s_cselect_b32 s21, s36, s60                                // 000000004B9C: 85153C24
	s_mov_b64 exec, s[20:21]                                   // 000000004BA0: BEFE0114
	global_atomic_add_f32 v6, v48, s[8:9]                      // 000000004BA4: DD348000 00083006
	global_atomic_add_f32 v6, v52, s[8:9] offset:256           // 000000004BAC: DD348100 00083406
	s_mov_b64 exec, s[36:37]                                   // 000000004BB4: BEFE0124
	v_mov_b32_e32 v6, v41                                      // 000000004BB8: 7E0C0329
	s_mov_b64 s[60:61], 0                                      // 000000004BBC: BEBC0180
	v_readlane_b32 s82, v3, 2                                  // 000000004BC0: D2890052 00010503
	s_and_b32 s82, s82, 0xffffff                               // 000000004BC8: 8652FF52 00FFFFFF
	s_cmp_lt_u32 s82, s66                                      // 000000004BD0: BF0A4252
	s_cselect_b32 s20, s36, s60                                // 000000004BD4: 85143C24
	v_readlane_b32 s82, v3, 3                                  // 000000004BD8: D2890052 00010703
	s_and_b32 s82, s82, 0xffffff                               // 000000004BE0: 8652FF52 00FFFFFF
	s_cmp_lt_u32 s82, s66                                      // 000000004BE8: BF0A4252
	s_cselect_b32 s21, s36, s60                                // 000000004BEC: 85153C24
	s_mov_b64 exec, s[20:21]                                   // 000000004BF0: BEFE0114
	global_atomic_add_f32 v6, v49, s[8:9]                      // 000000004BF4: DD348000 00083106
	global_atomic_add_f32 v6, v53, s[8:9] offset:256           // 000000004BFC: DD348100 00083506
	s_mov_b64 exec, s[36:37]                                   // 000000004C04: BEFE0124
	v_mov_b32_e32 v6, v42                                      // 000000004C08: 7E0C032A
	s_mov_b64 s[60:61], 0                                      // 000000004C0C: BEBC0180
	v_readlane_b32 s82, v3, 4                                  // 000000004C10: D2890052 00010903
	s_and_b32 s82, s82, 0xffffff                               // 000000004C18: 8652FF52 00FFFFFF
	s_cmp_lt_u32 s82, s66                                      // 000000004C20: BF0A4252
	s_cselect_b32 s20, s36, s60                                // 000000004C24: 85143C24
	v_readlane_b32 s82, v3, 5                                  // 000000004C28: D2890052 00010B03
	s_and_b32 s82, s82, 0xffffff                               // 000000004C30: 8652FF52 00FFFFFF
	s_cmp_lt_u32 s82, s66                                      // 000000004C38: BF0A4252
	s_cselect_b32 s21, s36, s60                                // 000000004C3C: 85153C24
	s_mov_b64 exec, s[20:21]                                   // 000000004C40: BEFE0114
	global_atomic_add_f32 v6, v56, s[8:9]                      // 000000004C44: DD348000 00083806
	global_atomic_add_f32 v6, v60, s[8:9] offset:256           // 000000004C4C: DD348100 00083C06
	s_mov_b64 exec, s[36:37]                                   // 000000004C54: BEFE0124
	v_mov_b32_e32 v6, v43                                      // 000000004C58: 7E0C032B
	s_mov_b64 s[60:61], 0                                      // 000000004C5C: BEBC0180
	v_readlane_b32 s82, v3, 6                                  // 000000004C60: D2890052 00010D03
	s_and_b32 s82, s82, 0xffffff                               // 000000004C68: 8652FF52 00FFFFFF
	s_cmp_lt_u32 s82, s66                                      // 000000004C70: BF0A4252
	s_cselect_b32 s20, s36, s60                                // 000000004C74: 85143C24
	v_readlane_b32 s82, v3, 7                                  // 000000004C78: D2890052 00010F03
	s_and_b32 s82, s82, 0xffffff                               // 000000004C80: 8652FF52 00FFFFFF
	s_cmp_lt_u32 s82, s66                                      // 000000004C88: BF0A4252
	s_cselect_b32 s21, s36, s60                                // 000000004C8C: 85153C24
	s_mov_b64 exec, s[20:21]                                   // 000000004C90: BEFE0114
	global_atomic_add_f32 v6, v57, s[8:9]                      // 000000004C94: DD348000 00083906
	global_atomic_add_f32 v6, v61, s[8:9] offset:256           // 000000004C9C: DD348100 00083D06
	s_mov_b64 exec, s[36:37]                                   // 000000004CA4: BEFE0124
	v_mov_b32_e32 v6, v44                                      // 000000004CA8: 7E0C032C
	s_mov_b64 s[60:61], 0                                      // 000000004CAC: BEBC0180
	v_readlane_b32 s82, v3, 8                                  // 000000004CB0: D2890052 00011103
	s_and_b32 s82, s82, 0xffffff                               // 000000004CB8: 8652FF52 00FFFFFF
	s_cmp_lt_u32 s82, s66                                      // 000000004CC0: BF0A4252
	s_cselect_b32 s20, s36, s60                                // 000000004CC4: 85143C24
	v_readlane_b32 s82, v3, 9                                  // 000000004CC8: D2890052 00011303
	s_and_b32 s82, s82, 0xffffff                               // 000000004CD0: 8652FF52 00FFFFFF
	s_cmp_lt_u32 s82, s66                                      // 000000004CD8: BF0A4252
	s_cselect_b32 s21, s36, s60                                // 000000004CDC: 85153C24
	s_mov_b64 exec, s[20:21]                                   // 000000004CE0: BEFE0114
	global_atomic_add_f32 v6, v64, s[8:9]                      // 000000004CE4: DD348000 00084006
	global_atomic_add_f32 v6, v68, s[8:9] offset:256           // 000000004CEC: DD348100 00084406
	s_mov_b64 exec, s[36:37]                                   // 000000004CF4: BEFE0124
	v_mov_b32_e32 v6, v45                                      // 000000004CF8: 7E0C032D
	s_mov_b64 s[60:61], 0                                      // 000000004CFC: BEBC0180
	v_readlane_b32 s82, v3, 10                                 // 000000004D00: D2890052 00011503
	s_and_b32 s82, s82, 0xffffff                               // 000000004D08: 8652FF52 00FFFFFF
	s_cmp_lt_u32 s82, s66                                      // 000000004D10: BF0A4252
	s_cselect_b32 s20, s36, s60                                // 000000004D14: 85143C24
	v_readlane_b32 s82, v3, 11                                 // 000000004D18: D2890052 00011703
	s_and_b32 s82, s82, 0xffffff                               // 000000004D20: 8652FF52 00FFFFFF
	s_cmp_lt_u32 s82, s66                                      // 000000004D28: BF0A4252
	s_cselect_b32 s21, s36, s60                                // 000000004D2C: 85153C24
	s_mov_b64 exec, s[20:21]                                   // 000000004D30: BEFE0114
	global_atomic_add_f32 v6, v65, s[8:9]                      // 000000004D34: DD348000 00084106
	global_atomic_add_f32 v6, v69, s[8:9] offset:256           // 000000004D3C: DD348100 00084506
	s_mov_b64 exec, s[36:37]                                   // 000000004D44: BEFE0124
	ds_write_b64 v20, v[50:51]                                 // 000000004D48: D89A0000 00003214
	ds_write_b64 v20, v[54:55] offset:4352                     // 000000004D50: D89A1100 00003614
	ds_write_b64 v20, v[58:59] offset:8704                     // 000000004D58: D89A2200 00003A14
	ds_write_b64 v20, v[62:63] offset:2176                     // 000000004D60: D89A0880 00003E14
	ds_write_b64 v20, v[66:67] offset:6528                     // 000000004D68: D89A1980 00004214
	ds_write_b64 v20, v[70:71] offset:10880                    // 000000004D70: D89A2A80 00004614
	s_waitcnt lgkmcnt(0)                                       // 000000004D78: BF8CC07F
	s_barrier                                                  // 000000004D7C: BF8A0000
	ds_read_b32 v50, v21                                       // 000000004D80: D86C0000 32000015
	ds_read_b32 v51, v21 offset:64                             // 000000004D88: D86C0040 33000015
	ds_read_b32 v54, v21 offset:2176                           // 000000004D90: D86C0880 36000015
	ds_read_b32 v55, v21 offset:2240                           // 000000004D98: D86C08C0 37000015
	ds_read_b32 v58, v21 offset:4352                           // 000000004DA0: D86C1100 3A000015
	ds_read_b32 v59, v21 offset:4416                           // 000000004DA8: D86C1140 3B000015
	ds_read_b32 v62, v21 offset:6528                           // 000000004DB0: D86C1980 3E000015
	ds_read_b32 v63, v21 offset:6592                           // 000000004DB8: D86C19C0 3F000015
	ds_read_b32 v66, v21 offset:8704                           // 000000004DC0: D86C2200 42000015
	ds_read_b32 v67, v21 offset:8768                           // 000000004DC8: D86C2240 43000015
	ds_read_b32 v70, v21 offset:10880                          // 000000004DD0: D86C2A80 46000015
	ds_read_b32 v71, v21 offset:10944                          // 000000004DD8: D86C2AC0 47000015
	s_waitcnt lgkmcnt(0)                                       // 000000004DE0: BF8CC07F
	v_mov_b32_e32 v7, 0                                        // 000000004DE4: 7E0E0280
	s_mov_b64 exec, s[36:37]                                   // 000000004DE8: BEFE0124
	v_mov_b32_e32 v6, v40                                      // 000000004DEC: 7E0C0328
	s_mov_b64 s[60:61], 0                                      // 000000004DF0: BEBC0180
	v_readlane_b32 s82, v3, 0                                  // 000000004DF4: D2890052 00010103
	s_and_b32 s82, s82, 0xffffff                               // 000000004DFC: 8652FF52 00FFFFFF
	s_cmp_lt_u32 s82, s66                                      // 000000004E04: BF0A4252
	s_cselect_b32 s20, s36, s60                                // 000000004E08: 85143C24
	v_readlane_b32 s82, v3, 1                                  // 000000004E0C: D2890052 00010303
	s_and_b32 s82, s82, 0xffffff                               // 000000004E14: 8652FF52 00FFFFFF
	s_cmp_lt_u32 s82, s66                                      // 000000004E1C: BF0A4252
	s_cselect_b32 s21, s36, s60                                // 000000004E20: 85153C24
	s_mov_b64 exec, s[20:21]                                   // 000000004E24: BEFE0114
	global_atomic_add_f32 v6, v50, s[8:9] offset:8             // 000000004E28: DD348008 00083206
	global_atomic_add_f32 v6, v54, s[8:9] offset:264           // 000000004E30: DD348108 00083606
	s_mov_b64 exec, s[36:37]                                   // 000000004E38: BEFE0124
	v_mov_b32_e32 v6, v41                                      // 000000004E3C: 7E0C0329
	s_mov_b64 s[60:61], 0                                      // 000000004E40: BEBC0180
	v_readlane_b32 s82, v3, 2                                  // 000000004E44: D2890052 00010503
	s_and_b32 s82, s82, 0xffffff                               // 000000004E4C: 8652FF52 00FFFFFF
	s_cmp_lt_u32 s82, s66                                      // 000000004E54: BF0A4252
	s_cselect_b32 s20, s36, s60                                // 000000004E58: 85143C24
	v_readlane_b32 s82, v3, 3                                  // 000000004E5C: D2890052 00010703
	s_and_b32 s82, s82, 0xffffff                               // 000000004E64: 8652FF52 00FFFFFF
	s_cmp_lt_u32 s82, s66                                      // 000000004E6C: BF0A4252
	s_cselect_b32 s21, s36, s60                                // 000000004E70: 85153C24
	s_mov_b64 exec, s[20:21]                                   // 000000004E74: BEFE0114
	global_atomic_add_f32 v6, v51, s[8:9] offset:8             // 000000004E78: DD348008 00083306
	global_atomic_add_f32 v6, v55, s[8:9] offset:264           // 000000004E80: DD348108 00083706
	s_mov_b64 exec, s[36:37]                                   // 000000004E88: BEFE0124
	v_mov_b32_e32 v6, v42                                      // 000000004E8C: 7E0C032A
	s_mov_b64 s[60:61], 0                                      // 000000004E90: BEBC0180
	v_readlane_b32 s82, v3, 4                                  // 000000004E94: D2890052 00010903
	s_and_b32 s82, s82, 0xffffff                               // 000000004E9C: 8652FF52 00FFFFFF
	s_cmp_lt_u32 s82, s66                                      // 000000004EA4: BF0A4252
	s_cselect_b32 s20, s36, s60                                // 000000004EA8: 85143C24
	v_readlane_b32 s82, v3, 5                                  // 000000004EAC: D2890052 00010B03
	s_and_b32 s82, s82, 0xffffff                               // 000000004EB4: 8652FF52 00FFFFFF
	s_cmp_lt_u32 s82, s66                                      // 000000004EBC: BF0A4252
	s_cselect_b32 s21, s36, s60                                // 000000004EC0: 85153C24
	s_mov_b64 exec, s[20:21]                                   // 000000004EC4: BEFE0114
	global_atomic_add_f32 v6, v58, s[8:9] offset:8             // 000000004EC8: DD348008 00083A06
	global_atomic_add_f32 v6, v62, s[8:9] offset:264           // 000000004ED0: DD348108 00083E06
	s_mov_b64 exec, s[36:37]                                   // 000000004ED8: BEFE0124
	v_mov_b32_e32 v6, v43                                      // 000000004EDC: 7E0C032B
	s_mov_b64 s[60:61], 0                                      // 000000004EE0: BEBC0180
	v_readlane_b32 s82, v3, 6                                  // 000000004EE4: D2890052 00010D03
	s_and_b32 s82, s82, 0xffffff                               // 000000004EEC: 8652FF52 00FFFFFF
	s_cmp_lt_u32 s82, s66                                      // 000000004EF4: BF0A4252
	s_cselect_b32 s20, s36, s60                                // 000000004EF8: 85143C24
	v_readlane_b32 s82, v3, 7                                  // 000000004EFC: D2890052 00010F03
	s_and_b32 s82, s82, 0xffffff                               // 000000004F04: 8652FF52 00FFFFFF
	s_cmp_lt_u32 s82, s66                                      // 000000004F0C: BF0A4252
	s_cselect_b32 s21, s36, s60                                // 000000004F10: 85153C24
	s_mov_b64 exec, s[20:21]                                   // 000000004F14: BEFE0114
	global_atomic_add_f32 v6, v59, s[8:9] offset:8             // 000000004F18: DD348008 00083B06
	global_atomic_add_f32 v6, v63, s[8:9] offset:264           // 000000004F20: DD348108 00083F06
	s_mov_b64 exec, s[36:37]                                   // 000000004F28: BEFE0124
	v_mov_b32_e32 v6, v44                                      // 000000004F2C: 7E0C032C
	s_mov_b64 s[60:61], 0                                      // 000000004F30: BEBC0180
	v_readlane_b32 s82, v3, 8                                  // 000000004F34: D2890052 00011103
	s_and_b32 s82, s82, 0xffffff                               // 000000004F3C: 8652FF52 00FFFFFF
	s_cmp_lt_u32 s82, s66                                      // 000000004F44: BF0A4252
	s_cselect_b32 s20, s36, s60                                // 000000004F48: 85143C24
	v_readlane_b32 s82, v3, 9                                  // 000000004F4C: D2890052 00011303
	s_and_b32 s82, s82, 0xffffff                               // 000000004F54: 8652FF52 00FFFFFF
	s_cmp_lt_u32 s82, s66                                      // 000000004F5C: BF0A4252
	s_cselect_b32 s21, s36, s60                                // 000000004F60: 85153C24
	s_mov_b64 exec, s[20:21]                                   // 000000004F64: BEFE0114
	global_atomic_add_f32 v6, v66, s[8:9] offset:8             // 000000004F68: DD348008 00084206
	global_atomic_add_f32 v6, v70, s[8:9] offset:264           // 000000004F70: DD348108 00084606
	s_mov_b64 exec, s[36:37]                                   // 000000004F78: BEFE0124
	v_mov_b32_e32 v6, v45                                      // 000000004F7C: 7E0C032D
	s_mov_b64 s[60:61], 0                                      // 000000004F80: BEBC0180
	v_readlane_b32 s82, v3, 10                                 // 000000004F84: D2890052 00011503
	s_and_b32 s82, s82, 0xffffff                               // 000000004F8C: 8652FF52 00FFFFFF
	s_cmp_lt_u32 s82, s66                                      // 000000004F94: BF0A4252
	s_cselect_b32 s20, s36, s60                                // 000000004F98: 85143C24
	v_readlane_b32 s82, v3, 11                                 // 000000004F9C: D2890052 00011703
	s_and_b32 s82, s82, 0xffffff                               // 000000004FA4: 8652FF52 00FFFFFF
	s_cmp_lt_u32 s82, s66                                      // 000000004FAC: BF0A4252
	s_cselect_b32 s21, s36, s60                                // 000000004FB0: 85153C24
	s_mov_b64 exec, s[20:21]                                   // 000000004FB4: BEFE0114
	global_atomic_add_f32 v6, v67, s[8:9] offset:8             // 000000004FB8: DD348008 00084306
	global_atomic_add_f32 v6, v71, s[8:9] offset:264           // 000000004FC0: DD348108 00084706
	s_mov_b64 exec, s[36:37]                                   // 000000004FC8: BEFE0124
	ds_write_b64 v20, v[72:73]                                 // 000000004FCC: D89A0000 00004814
	ds_write_b64 v20, v[76:77] offset:4352                     // 000000004FD4: D89A1100 00004C14
	ds_write_b64 v20, v[80:81] offset:8704                     // 000000004FDC: D89A2200 00005014
	ds_write_b64 v20, v[84:85] offset:2176                     // 000000004FE4: D89A0880 00005414
	ds_write_b64 v20, v[88:89] offset:6528                     // 000000004FEC: D89A1980 00005814
	ds_write_b64 v20, v[92:93] offset:10880                    // 000000004FF4: D89A2A80 00005C14
	s_waitcnt lgkmcnt(0)                                       // 000000004FFC: BF8CC07F
	s_barrier                                                  // 000000005000: BF8A0000
	ds_read_b32 v72, v21                                       // 000000005004: D86C0000 48000015
	ds_read_b32 v73, v21 offset:64                             // 00000000500C: D86C0040 49000015
	ds_read_b32 v76, v21 offset:2176                           // 000000005014: D86C0880 4C000015
	ds_read_b32 v77, v21 offset:2240                           // 00000000501C: D86C08C0 4D000015
	ds_read_b32 v80, v21 offset:4352                           // 000000005024: D86C1100 50000015
	ds_read_b32 v81, v21 offset:4416                           // 00000000502C: D86C1140 51000015
	ds_read_b32 v84, v21 offset:6528                           // 000000005034: D86C1980 54000015
	ds_read_b32 v85, v21 offset:6592                           // 00000000503C: D86C19C0 55000015
	ds_read_b32 v88, v21 offset:8704                           // 000000005044: D86C2200 58000015
	ds_read_b32 v89, v21 offset:8768                           // 00000000504C: D86C2240 59000015
	ds_read_b32 v92, v21 offset:10880                          // 000000005054: D86C2A80 5C000015
	ds_read_b32 v93, v21 offset:10944                          // 00000000505C: D86C2AC0 5D000015
	s_mul_i32 s60, s65, 4                                      // 000000005064: 923C8441
	s_add_u32 s8, s60, s8                                      // 000000005068: 8008083C
	s_addc_u32 s9, 0, s9                                       // 00000000506C: 82090980
	s_waitcnt lgkmcnt(0)                                       // 000000005070: BF8CC07F
	v_mov_b32_e32 v7, 0                                        // 000000005074: 7E0E0280
	s_mov_b64 exec, s[36:37]                                   // 000000005078: BEFE0124
	v_mov_b32_e32 v6, v40                                      // 00000000507C: 7E0C0328
	s_mov_b64 s[60:61], 0                                      // 000000005080: BEBC0180
	v_readlane_b32 s82, v3, 0                                  // 000000005084: D2890052 00010103
	s_and_b32 s82, s82, 0xffffff                               // 00000000508C: 8652FF52 00FFFFFF
	s_cmp_lt_u32 s82, s66                                      // 000000005094: BF0A4252
	s_cselect_b32 s20, s36, s60                                // 000000005098: 85143C24
	v_readlane_b32 s82, v3, 1                                  // 00000000509C: D2890052 00010303
	s_and_b32 s82, s82, 0xffffff                               // 0000000050A4: 8652FF52 00FFFFFF
	s_cmp_lt_u32 s82, s66                                      // 0000000050AC: BF0A4252
	s_cselect_b32 s21, s36, s60                                // 0000000050B0: 85153C24
	s_mov_b64 exec, s[20:21]                                   // 0000000050B4: BEFE0114
	global_atomic_add_f32 v6, v72, s[8:9]                      // 0000000050B8: DD348000 00084806
	global_atomic_add_f32 v6, v76, s[8:9] offset:256           // 0000000050C0: DD348100 00084C06
	s_mov_b64 exec, s[36:37]                                   // 0000000050C8: BEFE0124
	v_mov_b32_e32 v6, v41                                      // 0000000050CC: 7E0C0329
	s_mov_b64 s[60:61], 0                                      // 0000000050D0: BEBC0180
	v_readlane_b32 s82, v3, 2                                  // 0000000050D4: D2890052 00010503
	s_and_b32 s82, s82, 0xffffff                               // 0000000050DC: 8652FF52 00FFFFFF
	s_cmp_lt_u32 s82, s66                                      // 0000000050E4: BF0A4252
	s_cselect_b32 s20, s36, s60                                // 0000000050E8: 85143C24
	v_readlane_b32 s82, v3, 3                                  // 0000000050EC: D2890052 00010703
	s_and_b32 s82, s82, 0xffffff                               // 0000000050F4: 8652FF52 00FFFFFF
	s_cmp_lt_u32 s82, s66                                      // 0000000050FC: BF0A4252
	s_cselect_b32 s21, s36, s60                                // 000000005100: 85153C24
	s_mov_b64 exec, s[20:21]                                   // 000000005104: BEFE0114
	global_atomic_add_f32 v6, v73, s[8:9]                      // 000000005108: DD348000 00084906
	global_atomic_add_f32 v6, v77, s[8:9] offset:256           // 000000005110: DD348100 00084D06
	s_mov_b64 exec, s[36:37]                                   // 000000005118: BEFE0124
	v_mov_b32_e32 v6, v42                                      // 00000000511C: 7E0C032A
	s_mov_b64 s[60:61], 0                                      // 000000005120: BEBC0180
	v_readlane_b32 s82, v3, 4                                  // 000000005124: D2890052 00010903
	s_and_b32 s82, s82, 0xffffff                               // 00000000512C: 8652FF52 00FFFFFF
	s_cmp_lt_u32 s82, s66                                      // 000000005134: BF0A4252
	s_cselect_b32 s20, s36, s60                                // 000000005138: 85143C24
	v_readlane_b32 s82, v3, 5                                  // 00000000513C: D2890052 00010B03
	s_and_b32 s82, s82, 0xffffff                               // 000000005144: 8652FF52 00FFFFFF
	s_cmp_lt_u32 s82, s66                                      // 00000000514C: BF0A4252
	s_cselect_b32 s21, s36, s60                                // 000000005150: 85153C24
	s_mov_b64 exec, s[20:21]                                   // 000000005154: BEFE0114
	global_atomic_add_f32 v6, v80, s[8:9]                      // 000000005158: DD348000 00085006
	global_atomic_add_f32 v6, v84, s[8:9] offset:256           // 000000005160: DD348100 00085406
	s_mov_b64 exec, s[36:37]                                   // 000000005168: BEFE0124
	v_mov_b32_e32 v6, v43                                      // 00000000516C: 7E0C032B
	s_mov_b64 s[60:61], 0                                      // 000000005170: BEBC0180
	v_readlane_b32 s82, v3, 6                                  // 000000005174: D2890052 00010D03
	s_and_b32 s82, s82, 0xffffff                               // 00000000517C: 8652FF52 00FFFFFF
	s_cmp_lt_u32 s82, s66                                      // 000000005184: BF0A4252
	s_cselect_b32 s20, s36, s60                                // 000000005188: 85143C24
	v_readlane_b32 s82, v3, 7                                  // 00000000518C: D2890052 00010F03
	s_and_b32 s82, s82, 0xffffff                               // 000000005194: 8652FF52 00FFFFFF
	s_cmp_lt_u32 s82, s66                                      // 00000000519C: BF0A4252
	s_cselect_b32 s21, s36, s60                                // 0000000051A0: 85153C24
	s_mov_b64 exec, s[20:21]                                   // 0000000051A4: BEFE0114
	global_atomic_add_f32 v6, v81, s[8:9]                      // 0000000051A8: DD348000 00085106
	global_atomic_add_f32 v6, v85, s[8:9] offset:256           // 0000000051B0: DD348100 00085506
	s_mov_b64 exec, s[36:37]                                   // 0000000051B8: BEFE0124
	v_mov_b32_e32 v6, v44                                      // 0000000051BC: 7E0C032C
	s_mov_b64 s[60:61], 0                                      // 0000000051C0: BEBC0180
	v_readlane_b32 s82, v3, 8                                  // 0000000051C4: D2890052 00011103
	s_and_b32 s82, s82, 0xffffff                               // 0000000051CC: 8652FF52 00FFFFFF
	s_cmp_lt_u32 s82, s66                                      // 0000000051D4: BF0A4252
	s_cselect_b32 s20, s36, s60                                // 0000000051D8: 85143C24
	v_readlane_b32 s82, v3, 9                                  // 0000000051DC: D2890052 00011303
	s_and_b32 s82, s82, 0xffffff                               // 0000000051E4: 8652FF52 00FFFFFF
	s_cmp_lt_u32 s82, s66                                      // 0000000051EC: BF0A4252
	s_cselect_b32 s21, s36, s60                                // 0000000051F0: 85153C24
	s_mov_b64 exec, s[20:21]                                   // 0000000051F4: BEFE0114
	global_atomic_add_f32 v6, v88, s[8:9]                      // 0000000051F8: DD348000 00085806
	global_atomic_add_f32 v6, v92, s[8:9] offset:256           // 000000005200: DD348100 00085C06
	s_mov_b64 exec, s[36:37]                                   // 000000005208: BEFE0124
	v_mov_b32_e32 v6, v45                                      // 00000000520C: 7E0C032D
	s_mov_b64 s[60:61], 0                                      // 000000005210: BEBC0180
	v_readlane_b32 s82, v3, 10                                 // 000000005214: D2890052 00011503
	s_and_b32 s82, s82, 0xffffff                               // 00000000521C: 8652FF52 00FFFFFF
	s_cmp_lt_u32 s82, s66                                      // 000000005224: BF0A4252
	s_cselect_b32 s20, s36, s60                                // 000000005228: 85143C24
	v_readlane_b32 s82, v3, 11                                 // 00000000522C: D2890052 00011703
	s_and_b32 s82, s82, 0xffffff                               // 000000005234: 8652FF52 00FFFFFF
	s_cmp_lt_u32 s82, s66                                      // 00000000523C: BF0A4252
	s_cselect_b32 s21, s36, s60                                // 000000005240: 85153C24
	s_mov_b64 exec, s[20:21]                                   // 000000005244: BEFE0114
	global_atomic_add_f32 v6, v89, s[8:9]                      // 000000005248: DD348000 00085906
	global_atomic_add_f32 v6, v93, s[8:9] offset:256           // 000000005250: DD348100 00085D06
	s_mov_b64 exec, s[36:37]                                   // 000000005258: BEFE0124
	ds_write_b64 v20, v[74:75]                                 // 00000000525C: D89A0000 00004A14
	ds_write_b64 v20, v[78:79] offset:4352                     // 000000005264: D89A1100 00004E14
	ds_write_b64 v20, v[82:83] offset:8704                     // 00000000526C: D89A2200 00005214
	ds_write_b64 v20, v[86:87] offset:2176                     // 000000005274: D89A0880 00005614
	ds_write_b64 v20, v[90:91] offset:6528                     // 00000000527C: D89A1980 00005A14
	ds_write_b64 v20, v[94:95] offset:10880                    // 000000005284: D89A2A80 00005E14
	s_waitcnt lgkmcnt(0)                                       // 00000000528C: BF8CC07F
	s_barrier                                                  // 000000005290: BF8A0000
	ds_read_b32 v74, v21                                       // 000000005294: D86C0000 4A000015
	ds_read_b32 v75, v21 offset:64                             // 00000000529C: D86C0040 4B000015
	ds_read_b32 v78, v21 offset:2176                           // 0000000052A4: D86C0880 4E000015
	ds_read_b32 v79, v21 offset:2240                           // 0000000052AC: D86C08C0 4F000015
	ds_read_b32 v82, v21 offset:4352                           // 0000000052B4: D86C1100 52000015
	ds_read_b32 v83, v21 offset:4416                           // 0000000052BC: D86C1140 53000015
	ds_read_b32 v86, v21 offset:6528                           // 0000000052C4: D86C1980 56000015
	ds_read_b32 v87, v21 offset:6592                           // 0000000052CC: D86C19C0 57000015
	ds_read_b32 v90, v21 offset:8704                           // 0000000052D4: D86C2200 5A000015
	ds_read_b32 v91, v21 offset:8768                           // 0000000052DC: D86C2240 5B000015
	ds_read_b32 v94, v21 offset:10880                          // 0000000052E4: D86C2A80 5E000015
	ds_read_b32 v95, v21 offset:10944                          // 0000000052EC: D86C2AC0 5F000015
	s_waitcnt lgkmcnt(0)                                       // 0000000052F4: BF8CC07F
	v_mov_b32_e32 v7, 0                                        // 0000000052F8: 7E0E0280
	s_mov_b64 exec, s[36:37]                                   // 0000000052FC: BEFE0124
	v_mov_b32_e32 v6, v40                                      // 000000005300: 7E0C0328
	s_mov_b64 s[60:61], 0                                      // 000000005304: BEBC0180
	v_readlane_b32 s82, v3, 0                                  // 000000005308: D2890052 00010103
	s_and_b32 s82, s82, 0xffffff                               // 000000005310: 8652FF52 00FFFFFF
	s_cmp_lt_u32 s82, s66                                      // 000000005318: BF0A4252
	s_cselect_b32 s20, s36, s60                                // 00000000531C: 85143C24
	v_readlane_b32 s82, v3, 1                                  // 000000005320: D2890052 00010303
	s_and_b32 s82, s82, 0xffffff                               // 000000005328: 8652FF52 00FFFFFF
	s_cmp_lt_u32 s82, s66                                      // 000000005330: BF0A4252
	s_cselect_b32 s21, s36, s60                                // 000000005334: 85153C24
	s_mov_b64 exec, s[20:21]                                   // 000000005338: BEFE0114
	global_atomic_add_f32 v6, v74, s[8:9] offset:8             // 00000000533C: DD348008 00084A06
	global_atomic_add_f32 v6, v78, s[8:9] offset:264           // 000000005344: DD348108 00084E06
	s_mov_b64 exec, s[36:37]                                   // 00000000534C: BEFE0124
	v_mov_b32_e32 v6, v41                                      // 000000005350: 7E0C0329
	s_mov_b64 s[60:61], 0                                      // 000000005354: BEBC0180
	v_readlane_b32 s82, v3, 2                                  // 000000005358: D2890052 00010503
	s_and_b32 s82, s82, 0xffffff                               // 000000005360: 8652FF52 00FFFFFF
	s_cmp_lt_u32 s82, s66                                      // 000000005368: BF0A4252
	s_cselect_b32 s20, s36, s60                                // 00000000536C: 85143C24
	v_readlane_b32 s82, v3, 3                                  // 000000005370: D2890052 00010703
	s_and_b32 s82, s82, 0xffffff                               // 000000005378: 8652FF52 00FFFFFF
	s_cmp_lt_u32 s82, s66                                      // 000000005380: BF0A4252
	s_cselect_b32 s21, s36, s60                                // 000000005384: 85153C24
	s_mov_b64 exec, s[20:21]                                   // 000000005388: BEFE0114
	global_atomic_add_f32 v6, v75, s[8:9] offset:8             // 00000000538C: DD348008 00084B06
	global_atomic_add_f32 v6, v79, s[8:9] offset:264           // 000000005394: DD348108 00084F06
	s_mov_b64 exec, s[36:37]                                   // 00000000539C: BEFE0124
	v_mov_b32_e32 v6, v42                                      // 0000000053A0: 7E0C032A
	s_mov_b64 s[60:61], 0                                      // 0000000053A4: BEBC0180
	v_readlane_b32 s82, v3, 4                                  // 0000000053A8: D2890052 00010903
	s_and_b32 s82, s82, 0xffffff                               // 0000000053B0: 8652FF52 00FFFFFF
	s_cmp_lt_u32 s82, s66                                      // 0000000053B8: BF0A4252
	s_cselect_b32 s20, s36, s60                                // 0000000053BC: 85143C24
	v_readlane_b32 s82, v3, 5                                  // 0000000053C0: D2890052 00010B03
	s_and_b32 s82, s82, 0xffffff                               // 0000000053C8: 8652FF52 00FFFFFF
	s_cmp_lt_u32 s82, s66                                      // 0000000053D0: BF0A4252
	s_cselect_b32 s21, s36, s60                                // 0000000053D4: 85153C24
	s_mov_b64 exec, s[20:21]                                   // 0000000053D8: BEFE0114
	global_atomic_add_f32 v6, v82, s[8:9] offset:8             // 0000000053DC: DD348008 00085206
	global_atomic_add_f32 v6, v86, s[8:9] offset:264           // 0000000053E4: DD348108 00085606
	s_mov_b64 exec, s[36:37]                                   // 0000000053EC: BEFE0124
	v_mov_b32_e32 v6, v43                                      // 0000000053F0: 7E0C032B
	s_mov_b64 s[60:61], 0                                      // 0000000053F4: BEBC0180
	v_readlane_b32 s82, v3, 6                                  // 0000000053F8: D2890052 00010D03
	s_and_b32 s82, s82, 0xffffff                               // 000000005400: 8652FF52 00FFFFFF
	s_cmp_lt_u32 s82, s66                                      // 000000005408: BF0A4252
	s_cselect_b32 s20, s36, s60                                // 00000000540C: 85143C24
	v_readlane_b32 s82, v3, 7                                  // 000000005410: D2890052 00010F03
	s_and_b32 s82, s82, 0xffffff                               // 000000005418: 8652FF52 00FFFFFF
	s_cmp_lt_u32 s82, s66                                      // 000000005420: BF0A4252
	s_cselect_b32 s21, s36, s60                                // 000000005424: 85153C24
	s_mov_b64 exec, s[20:21]                                   // 000000005428: BEFE0114
	global_atomic_add_f32 v6, v83, s[8:9] offset:8             // 00000000542C: DD348008 00085306
	global_atomic_add_f32 v6, v87, s[8:9] offset:264           // 000000005434: DD348108 00085706
	s_mov_b64 exec, s[36:37]                                   // 00000000543C: BEFE0124
	v_mov_b32_e32 v6, v44                                      // 000000005440: 7E0C032C
	s_mov_b64 s[60:61], 0                                      // 000000005444: BEBC0180
	v_readlane_b32 s82, v3, 8                                  // 000000005448: D2890052 00011103
	s_and_b32 s82, s82, 0xffffff                               // 000000005450: 8652FF52 00FFFFFF
	s_cmp_lt_u32 s82, s66                                      // 000000005458: BF0A4252
	s_cselect_b32 s20, s36, s60                                // 00000000545C: 85143C24
	v_readlane_b32 s82, v3, 9                                  // 000000005460: D2890052 00011303
	s_and_b32 s82, s82, 0xffffff                               // 000000005468: 8652FF52 00FFFFFF
	s_cmp_lt_u32 s82, s66                                      // 000000005470: BF0A4252
	s_cselect_b32 s21, s36, s60                                // 000000005474: 85153C24
	s_mov_b64 exec, s[20:21]                                   // 000000005478: BEFE0114
	global_atomic_add_f32 v6, v90, s[8:9] offset:8             // 00000000547C: DD348008 00085A06
	global_atomic_add_f32 v6, v94, s[8:9] offset:264           // 000000005484: DD348108 00085E06
	s_mov_b64 exec, s[36:37]                                   // 00000000548C: BEFE0124
	v_mov_b32_e32 v6, v45                                      // 000000005490: 7E0C032D
	s_mov_b64 s[60:61], 0                                      // 000000005494: BEBC0180
	v_readlane_b32 s82, v3, 10                                 // 000000005498: D2890052 00011503
	s_and_b32 s82, s82, 0xffffff                               // 0000000054A0: 8652FF52 00FFFFFF
	s_cmp_lt_u32 s82, s66                                      // 0000000054A8: BF0A4252
	s_cselect_b32 s20, s36, s60                                // 0000000054AC: 85143C24
	v_readlane_b32 s82, v3, 11                                 // 0000000054B0: D2890052 00011703
	s_and_b32 s82, s82, 0xffffff                               // 0000000054B8: 8652FF52 00FFFFFF
	s_cmp_lt_u32 s82, s66                                      // 0000000054C0: BF0A4252
	s_cselect_b32 s21, s36, s60                                // 0000000054C4: 85153C24
	s_mov_b64 exec, s[20:21]                                   // 0000000054C8: BEFE0114
	global_atomic_add_f32 v6, v91, s[8:9] offset:8             // 0000000054CC: DD348008 00085B06
	global_atomic_add_f32 v6, v95, s[8:9] offset:264           // 0000000054D4: DD348108 00085F06
	s_mov_b64 exec, s[36:37]                                   // 0000000054DC: BEFE0124
	s_branch label_1364                                        // 0000000054E0: BF8208A8

00000000000054e4 <label_0ABC>:
	s_waitcnt vmcnt(2) lgkmcnt(0)                              // 0000000054E4: BF8C0072
	s_barrier                                                  // 0000000054E8: BF8A0000
	v_mfma_f32_16x16x32_fp8_fp8 v[48:51], a[48:49], a[0:1], v[48:51]// 0000000054EC: D3F30030 1CC20130
	buffer_load_dwordx4 a[64:67], v46, s[84:87], 0 offen       // 0000000054F4: E05C1000 8095402E
	v_mfma_f32_16x16x32_fp8_fp8 v[48:51], a[50:51], a[2:3], v[48:51]// 0000000054FC: D3F30030 1CC20532
	v_mfma_f32_16x16x32_fp8_fp8 v[48:51], a[52:53], a[4:5], v[48:51]// 000000005504: D3F30030 1CC20934
	v_mfma_f32_16x16x32_fp8_fp8 v[48:51], a[54:55], a[6:7], v[48:51]// 00000000550C: D3F30030 1CC20D36
	v_mfma_f32_16x16x32_fp8_fp8 v[52:55], a[48:49], a[8:9], v[52:55]// 000000005514: D3F30034 1CD21130
	buffer_load_dwordx4 a[68:71], v46, s[84:87], 0 offen offset:1024// 00000000551C: E05C1400 8095442E
	v_mfma_f32_16x16x32_fp8_fp8 v[52:55], a[50:51], a[10:11], v[52:55]// 000000005524: D3F30034 1CD21532
	v_mfma_f32_16x16x32_fp8_fp8 v[52:55], a[52:53], a[12:13], v[52:55]// 00000000552C: D3F30034 1CD21934
	v_mfma_f32_16x16x32_fp8_fp8 v[52:55], a[54:55], a[14:15], v[52:55]// 000000005534: D3F30034 1CD21D36
	v_mfma_f32_16x16x32_fp8_fp8 v[56:59], a[48:49], a[16:17], v[56:59]// 00000000553C: D3F30038 1CE22130
	buffer_load_dwordx4 a[72:75], v47, s[84:87], 0 offen       // 000000005544: E05C1000 8095482F
	v_mfma_f32_16x16x32_fp8_fp8 v[56:59], a[50:51], a[18:19], v[56:59]// 00000000554C: D3F30038 1CE22532
	v_mfma_f32_16x16x32_fp8_fp8 v[56:59], a[52:53], a[20:21], v[56:59]// 000000005554: D3F30038 1CE22934
	v_mfma_f32_16x16x32_fp8_fp8 v[56:59], a[54:55], a[22:23], v[56:59]// 00000000555C: D3F30038 1CE22D36
	s_waitcnt vmcnt(3)                                         // 000000005564: BF8C0F73
	v_mfma_f32_16x16x32_fp8_fp8 v[60:63], a[56:57], a[0:1], v[60:63]// 000000005568: D3F3003C 1CF20138
	buffer_load_dwordx4 a[76:79], v47, s[84:87], 0 offen offset:1024// 000000005570: E05C1400 80954C2F
	buffer_load_dword v40, s[20:23], 0 offen lds               // 000000005578: E0511000 80050028
	s_add_u32 m0, 0x100, s48                                   // 000000005580: 807C30FF 00000100
	v_mfma_f32_16x16x32_fp8_fp8 v[60:63], a[58:59], a[2:3], v[60:63]// 000000005588: D3F3003C 1CF2053A
	v_mfma_f32_16x16x32_fp8_fp8 v[60:63], a[60:61], a[4:5], v[60:63]// 000000005590: D3F3003C 1CF2093C
	buffer_load_dword v41, s[20:23], 0 offen lds               // 000000005598: E0511000 80050029
	s_add_u32 m0, 0x200, s48                                   // 0000000055A0: 807C30FF 00000200
	v_mfma_f32_16x16x32_fp8_fp8 v[60:63], a[62:63], a[6:7], v[60:63]// 0000000055A8: D3F3003C 1CF20D3E
	v_mfma_f32_16x16x32_fp8_fp8 v[64:67], a[56:57], a[8:9], v[64:67]// 0000000055B0: D3F30040 1D021138
	buffer_load_dword v42, s[20:23], 0 offen lds               // 0000000055B8: E0511000 8005002A
	s_add_u32 m0, 0x300, s48                                   // 0000000055C0: 807C30FF 00000300
	v_mfma_f32_16x16x32_fp8_fp8 v[64:67], a[58:59], a[10:11], v[64:67]// 0000000055C8: D3F30040 1D02153A
	v_mfma_f32_16x16x32_fp8_fp8 v[64:67], a[60:61], a[12:13], v[64:67]// 0000000055D0: D3F30040 1D02193C
	buffer_load_dword v43, s[20:23], 0 offen lds               // 0000000055D8: E0511000 8005002B
	s_add_u32 m0, 0x400, s48                                   // 0000000055E0: 807C30FF 00000400
	v_mfma_f32_16x16x32_fp8_fp8 v[64:67], a[62:63], a[14:15], v[64:67]// 0000000055E8: D3F30040 1D021D3E
	v_mfma_f32_16x16x32_fp8_fp8 v[68:71], a[56:57], a[16:17], v[68:71]// 0000000055F0: D3F30044 1D122138
	buffer_load_dword v44, s[20:23], 0 offen lds               // 0000000055F8: E0511000 8005002C
	s_add_u32 m0, 0x500, s48                                   // 000000005600: 807C30FF 00000500
	v_mfma_f32_16x16x32_fp8_fp8 v[68:71], a[58:59], a[18:19], v[68:71]// 000000005608: D3F30044 1D12253A
	s_add_u32 s60, 0x80, s80                                   // 000000005610: 803C50FF 00000080
	s_cmp_lt_u32 s60, s81                                      // 000000005618: BF0A513C
	s_cselect_b32 s83, s83, 0                                  // 00000000561C: 85538053
	v_mfma_f32_16x16x32_fp8_fp8 v[68:71], a[60:61], a[20:21], v[68:71]// 000000005620: D3F30044 1D12293C
	buffer_load_dword v45, s[20:23], 0 offen lds               // 000000005628: E0511000 8005002D
	s_add_u32 m0, 0, s49                                       // 000000005630: 807C3180
	v_mfma_f32_16x16x32_fp8_fp8 v[68:71], a[62:63], a[22:23], v[68:71]// 000000005634: D3F30044 1D122D3E
	s_waitcnt vmcnt(6)                                         // 00000000563C: BF8C0F76
	v_mfma_f32_16x16x32_fp8_fp8 v[72:75], a[64:65], a[0:1], v[72:75]// 000000005640: D3F30048 1D220140
	buffer_load_dwordx4 a[48:51], v46, s[24:27], 0 offen       // 000000005648: E05C1000 8086302E
	v_mfma_f32_16x16x32_fp8_fp8 v[72:75], a[66:67], a[2:3], v[72:75]// 000000005650: D3F30048 1D220542
	v_mfma_f32_16x16x32_fp8_fp8 v[72:75], a[68:69], a[4:5], v[72:75]// 000000005658: D3F30048 1D220944
	ds_read_b128 a[24:27], v2 offset:6272                      // 000000005660: DBFE1880 18000002
	ds_read_b128 a[28:31], v2 offset:6336                      // 000000005668: DBFE18C0 1C000002
	v_mfma_f32_16x16x32_fp8_fp8 v[72:75], a[70:71], a[6:7], v[72:75]// 000000005670: D3F30048 1D220D46
	v_mfma_f32_16x16x32_fp8_fp8 v[84:87], a[72:73], a[0:1], v[84:87]// 000000005678: D3F30054 1D520148
	buffer_load_dwordx4 a[52:55], v46, s[24:27], 0 offen offset:1024// 000000005680: E05C1400 8086342E
	v_mfma_f32_16x16x32_fp8_fp8 v[84:87], a[74:75], a[2:3], v[84:87]// 000000005688: D3F30054 1D52054A
	v_mfma_f32_16x16x32_fp8_fp8 v[84:87], a[76:77], a[4:5], v[84:87]// 000000005690: D3F30054 1D52094C
	ds_read_b128 a[32:35], v2 offset:6784                      // 000000005698: DBFE1A80 20000002
	ds_read_b128 a[36:39], v2 offset:6848                      // 0000000056A0: DBFE1AC0 24000002
	v_mfma_f32_16x16x32_fp8_fp8 v[84:87], a[78:79], a[6:7], v[84:87]// 0000000056A8: D3F30054 1D520D4E
	v_mfma_f32_16x16x32_fp8_fp8 v[76:79], a[64:65], a[8:9], v[76:79]// 0000000056B0: D3F3004C 1D321140
	buffer_load_dwordx4 a[56:59], v47, s[24:27], 0 offen       // 0000000056B8: E05C1000 8086382F
	v_mfma_f32_16x16x32_fp8_fp8 v[76:79], a[66:67], a[10:11], v[76:79]// 0000000056C0: D3F3004C 1D321542
	v_mfma_f32_16x16x32_fp8_fp8 v[76:79], a[68:69], a[12:13], v[76:79]// 0000000056C8: D3F3004C 1D321944
	ds_read_b128 a[40:43], v2 offset:7296                      // 0000000056D0: DBFE1C80 28000002
	ds_read_b128 a[44:47], v2 offset:7360                      // 0000000056D8: DBFE1CC0 2C000002
	v_mfma_f32_16x16x32_fp8_fp8 v[76:79], a[70:71], a[14:15], v[76:79]// 0000000056E0: D3F3004C 1D321D46
	v_mfma_f32_16x16x32_fp8_fp8 v[88:91], a[72:73], a[8:9], v[88:91]// 0000000056E8: D3F30058 1D621148
	buffer_load_dwordx4 a[60:63], v47, s[24:27], 0 offen offset:1024// 0000000056F0: E05C1400 80863C2F
	v_mfma_f32_16x16x32_fp8_fp8 v[88:91], a[74:75], a[10:11], v[88:91]// 0000000056F8: D3F30058 1D62154A
	v_mfma_f32_16x16x32_fp8_fp8 v[88:91], a[76:77], a[12:13], v[88:91]// 000000005700: D3F30058 1D62194C
	v_mfma_f32_16x16x32_fp8_fp8 v[88:91], a[78:79], a[14:15], v[88:91]// 000000005708: D3F30058 1D621D4E
	v_mfma_f32_16x16x32_fp8_fp8 v[80:83], a[64:65], a[16:17], v[80:83]// 000000005710: D3F30050 1D422140
	v_mfma_f32_16x16x32_fp8_fp8 v[80:83], a[66:67], a[18:19], v[80:83]// 000000005718: D3F30050 1D422542
	v_mfma_f32_16x16x32_fp8_fp8 v[80:83], a[68:69], a[20:21], v[80:83]// 000000005720: D3F30050 1D422944
	s_add_u32 s60, 0x180, s80                                  // 000000005728: 803C50FF 00000180
	s_cmp_lt_u32 s60, s81                                      // 000000005730: BF0A513C
	s_cselect_b32 s57, s57, 0                                  // 000000005734: 85398039
	v_mfma_f32_16x16x32_fp8_fp8 v[80:83], a[70:71], a[22:23], v[80:83]// 000000005738: D3F30050 1D422D46
	s_add_u32 s60, 0x100, s80                                  // 000000005740: 803C50FF 00000100
	s_cmp_lt_u32 s60, s81                                      // 000000005748: BF0A513C
	s_cselect_b32 s58, s58, 0                                  // 00000000574C: 853A803A
	v_mfma_f32_16x16x32_fp8_fp8 v[92:95], a[72:73], a[16:17], v[92:95]// 000000005750: D3F3005C 1D722148
	s_add_u32 s24, s58, s24                                    // 000000005758: 8018183A
	s_addc_u32 s25, 0, s25                                     // 00000000575C: 82191980
	v_mfma_f32_16x16x32_fp8_fp8 v[92:95], a[74:75], a[18:19], v[92:95]// 000000005760: D3F3005C 1D72254A
	s_add_u32 s20, s57, s20                                    // 000000005768: 80141439
	s_addc_u32 s21, 0, s21                                     // 00000000576C: 82151580
	v_mfma_f32_16x16x32_fp8_fp8 v[92:95], a[76:77], a[20:21], v[92:95]// 000000005770: D3F3005C 1D72294C
	s_add_u32 s84, s83, s84                                    // 000000005778: 80545453
	s_addc_u32 s85, 0, s85                                     // 00000000577C: 82555580
	v_mfma_f32_16x16x32_fp8_fp8 v[92:95], a[78:79], a[22:23], v[92:95]// 000000005780: D3F3005C 1D722D4E
	s_addk_i32 s80, 0x80                                       // 000000005788: B7500080
	s_cmp_lt_i32 s80, s81                                      // 00000000578C: BF045150
	s_cbranch_scc0 label_0C15                                  // 000000005790: BF8400AD
	s_waitcnt vmcnt(2) lgkmcnt(0)                              // 000000005794: BF8C0072
	s_barrier                                                  // 000000005798: BF8A0000
	v_mfma_f32_16x16x32_fp8_fp8 v[48:51], a[48:49], a[24:25], v[48:51]// 00000000579C: D3F30030 1CC23130
	buffer_load_dwordx4 a[64:67], v46, s[84:87], 0 offen       // 0000000057A4: E05C1000 8095402E
	v_mfma_f32_16x16x32_fp8_fp8 v[48:51], a[50:51], a[26:27], v[48:51]// 0000000057AC: D3F30030 1CC23532
	v_mfma_f32_16x16x32_fp8_fp8 v[48:51], a[52:53], a[28:29], v[48:51]// 0000000057B4: D3F30030 1CC23934
	v_mfma_f32_16x16x32_fp8_fp8 v[48:51], a[54:55], a[30:31], v[48:51]// 0000000057BC: D3F30030 1CC23D36
	v_mfma_f32_16x16x32_fp8_fp8 v[52:55], a[48:49], a[32:33], v[52:55]// 0000000057C4: D3F30034 1CD24130
	buffer_load_dwordx4 a[68:71], v46, s[84:87], 0 offen offset:1024// 0000000057CC: E05C1400 8095442E
	v_mfma_f32_16x16x32_fp8_fp8 v[52:55], a[50:51], a[34:35], v[52:55]// 0000000057D4: D3F30034 1CD24532
	v_mfma_f32_16x16x32_fp8_fp8 v[52:55], a[52:53], a[36:37], v[52:55]// 0000000057DC: D3F30034 1CD24934
	v_mfma_f32_16x16x32_fp8_fp8 v[52:55], a[54:55], a[38:39], v[52:55]// 0000000057E4: D3F30034 1CD24D36
	v_mfma_f32_16x16x32_fp8_fp8 v[56:59], a[48:49], a[40:41], v[56:59]// 0000000057EC: D3F30038 1CE25130
	buffer_load_dwordx4 a[72:75], v47, s[84:87], 0 offen       // 0000000057F4: E05C1000 8095482F
	v_mfma_f32_16x16x32_fp8_fp8 v[56:59], a[50:51], a[42:43], v[56:59]// 0000000057FC: D3F30038 1CE25532
	v_mfma_f32_16x16x32_fp8_fp8 v[56:59], a[52:53], a[44:45], v[56:59]// 000000005804: D3F30038 1CE25934
	v_mfma_f32_16x16x32_fp8_fp8 v[56:59], a[54:55], a[46:47], v[56:59]// 00000000580C: D3F30038 1CE25D36
	s_waitcnt vmcnt(3)                                         // 000000005814: BF8C0F73
	v_mfma_f32_16x16x32_fp8_fp8 v[60:63], a[56:57], a[24:25], v[60:63]// 000000005818: D3F3003C 1CF23138
	buffer_load_dwordx4 a[76:79], v47, s[84:87], 0 offen offset:1024// 000000005820: E05C1400 80954C2F
	buffer_load_dword v40, s[20:23], 0 offen lds               // 000000005828: E0511000 80050028
	s_add_u32 m0, 0x100, s49                                   // 000000005830: 807C31FF 00000100
	v_mfma_f32_16x16x32_fp8_fp8 v[60:63], a[58:59], a[26:27], v[60:63]// 000000005838: D3F3003C 1CF2353A
	v_mfma_f32_16x16x32_fp8_fp8 v[60:63], a[60:61], a[28:29], v[60:63]// 000000005840: D3F3003C 1CF2393C
	buffer_load_dword v41, s[20:23], 0 offen lds               // 000000005848: E0511000 80050029
	s_add_u32 m0, 0x200, s49                                   // 000000005850: 807C31FF 00000200
	v_mfma_f32_16x16x32_fp8_fp8 v[60:63], a[62:63], a[30:31], v[60:63]// 000000005858: D3F3003C 1CF23D3E
	v_mfma_f32_16x16x32_fp8_fp8 v[64:67], a[56:57], a[32:33], v[64:67]// 000000005860: D3F30040 1D024138
	buffer_load_dword v42, s[20:23], 0 offen lds               // 000000005868: E0511000 8005002A
	s_add_u32 m0, 0x300, s49                                   // 000000005870: 807C31FF 00000300
	v_mfma_f32_16x16x32_fp8_fp8 v[64:67], a[58:59], a[34:35], v[64:67]// 000000005878: D3F30040 1D02453A
	v_mfma_f32_16x16x32_fp8_fp8 v[64:67], a[60:61], a[36:37], v[64:67]// 000000005880: D3F30040 1D02493C
	buffer_load_dword v43, s[20:23], 0 offen lds               // 000000005888: E0511000 8005002B
	s_add_u32 m0, 0x400, s49                                   // 000000005890: 807C31FF 00000400
	v_mfma_f32_16x16x32_fp8_fp8 v[64:67], a[62:63], a[38:39], v[64:67]// 000000005898: D3F30040 1D024D3E
	v_mfma_f32_16x16x32_fp8_fp8 v[68:71], a[56:57], a[40:41], v[68:71]// 0000000058A0: D3F30044 1D125138
	buffer_load_dword v44, s[20:23], 0 offen lds               // 0000000058A8: E0511000 8005002C
	s_add_u32 m0, 0x500, s49                                   // 0000000058B0: 807C31FF 00000500
	v_mfma_f32_16x16x32_fp8_fp8 v[68:71], a[58:59], a[42:43], v[68:71]// 0000000058B8: D3F30044 1D12553A
	s_add_u32 s60, 0x80, s80                                   // 0000000058C0: 803C50FF 00000080
	s_cmp_lt_u32 s60, s81                                      // 0000000058C8: BF0A513C
	s_cselect_b32 s83, s83, 0                                  // 0000000058CC: 85538053
	v_mfma_f32_16x16x32_fp8_fp8 v[68:71], a[60:61], a[44:45], v[68:71]// 0000000058D0: D3F30044 1D12593C
	buffer_load_dword v45, s[20:23], 0 offen lds               // 0000000058D8: E0511000 8005002D
	s_add_u32 m0, 0, s48                                       // 0000000058E0: 807C3080
	v_mfma_f32_16x16x32_fp8_fp8 v[68:71], a[62:63], a[46:47], v[68:71]// 0000000058E4: D3F30044 1D125D3E
	s_waitcnt vmcnt(6)                                         // 0000000058EC: BF8C0F76
	v_mfma_f32_16x16x32_fp8_fp8 v[72:75], a[64:65], a[24:25], v[72:75]// 0000000058F0: D3F30048 1D223140
	buffer_load_dwordx4 a[48:51], v46, s[24:27], 0 offen       // 0000000058F8: E05C1000 8086302E
	v_mfma_f32_16x16x32_fp8_fp8 v[72:75], a[66:67], a[26:27], v[72:75]// 000000005900: D3F30048 1D223542
	v_mfma_f32_16x16x32_fp8_fp8 v[72:75], a[68:69], a[28:29], v[72:75]// 000000005908: D3F30048 1D223944
	ds_read_b128 a[0:3], v2                                    // 000000005910: DBFE0000 00000002
	ds_read_b128 a[4:7], v2 offset:64                          // 000000005918: DBFE0040 04000002
	v_mfma_f32_16x16x32_fp8_fp8 v[72:75], a[70:71], a[30:31], v[72:75]// 000000005920: D3F30048 1D223D46
	v_mfma_f32_16x16x32_fp8_fp8 v[84:87], a[72:73], a[24:25], v[84:87]// 000000005928: D3F30054 1D523148
	buffer_load_dwordx4 a[52:55], v46, s[24:27], 0 offen offset:1024// 000000005930: E05C1400 8086342E
	v_mfma_f32_16x16x32_fp8_fp8 v[84:87], a[74:75], a[26:27], v[84:87]// 000000005938: D3F30054 1D52354A
	v_mfma_f32_16x16x32_fp8_fp8 v[84:87], a[76:77], a[28:29], v[84:87]// 000000005940: D3F30054 1D52394C
	ds_read_b128 a[8:11], v2 offset:512                        // 000000005948: DBFE0200 08000002
	ds_read_b128 a[12:15], v2 offset:576                       // 000000005950: DBFE0240 0C000002
	v_mfma_f32_16x16x32_fp8_fp8 v[84:87], a[78:79], a[30:31], v[84:87]// 000000005958: D3F30054 1D523D4E
	v_mfma_f32_16x16x32_fp8_fp8 v[76:79], a[64:65], a[32:33], v[76:79]// 000000005960: D3F3004C 1D324140
	buffer_load_dwordx4 a[56:59], v47, s[24:27], 0 offen       // 000000005968: E05C1000 8086382F
	v_mfma_f32_16x16x32_fp8_fp8 v[76:79], a[66:67], a[34:35], v[76:79]// 000000005970: D3F3004C 1D324542
	v_mfma_f32_16x16x32_fp8_fp8 v[76:79], a[68:69], a[36:37], v[76:79]// 000000005978: D3F3004C 1D324944
	ds_read_b128 a[16:19], v2 offset:1024                      // 000000005980: DBFE0400 10000002
	ds_read_b128 a[20:23], v2 offset:1088                      // 000000005988: DBFE0440 14000002
	v_mfma_f32_16x16x32_fp8_fp8 v[76:79], a[70:71], a[38:39], v[76:79]// 000000005990: D3F3004C 1D324D46
	v_mfma_f32_16x16x32_fp8_fp8 v[88:91], a[72:73], a[32:33], v[88:91]// 000000005998: D3F30058 1D624148
	buffer_load_dwordx4 a[60:63], v47, s[24:27], 0 offen offset:1024// 0000000059A0: E05C1400 80863C2F
	v_mfma_f32_16x16x32_fp8_fp8 v[88:91], a[74:75], a[34:35], v[88:91]// 0000000059A8: D3F30058 1D62454A
	v_mfma_f32_16x16x32_fp8_fp8 v[88:91], a[76:77], a[36:37], v[88:91]// 0000000059B0: D3F30058 1D62494C
	v_mfma_f32_16x16x32_fp8_fp8 v[88:91], a[78:79], a[38:39], v[88:91]// 0000000059B8: D3F30058 1D624D4E
	v_mfma_f32_16x16x32_fp8_fp8 v[80:83], a[64:65], a[40:41], v[80:83]// 0000000059C0: D3F30050 1D425140
	v_mfma_f32_16x16x32_fp8_fp8 v[80:83], a[66:67], a[42:43], v[80:83]// 0000000059C8: D3F30050 1D425542
	v_mfma_f32_16x16x32_fp8_fp8 v[80:83], a[68:69], a[44:45], v[80:83]// 0000000059D0: D3F30050 1D425944
	s_add_u32 s60, 0x180, s80                                  // 0000000059D8: 803C50FF 00000180
	s_cmp_lt_u32 s60, s81                                      // 0000000059E0: BF0A513C
	s_cselect_b32 s57, s57, 0                                  // 0000000059E4: 85398039
	v_mfma_f32_16x16x32_fp8_fp8 v[80:83], a[70:71], a[46:47], v[80:83]// 0000000059E8: D3F30050 1D425D46
	s_add_u32 s60, 0x100, s80                                  // 0000000059F0: 803C50FF 00000100
	s_cmp_lt_u32 s60, s81                                      // 0000000059F8: BF0A513C
	s_cselect_b32 s58, s58, 0                                  // 0000000059FC: 853A803A
	v_mfma_f32_16x16x32_fp8_fp8 v[92:95], a[72:73], a[40:41], v[92:95]// 000000005A00: D3F3005C 1D725148
	s_add_u32 s24, s58, s24                                    // 000000005A08: 8018183A
	s_addc_u32 s25, 0, s25                                     // 000000005A0C: 82191980
	v_mfma_f32_16x16x32_fp8_fp8 v[92:95], a[74:75], a[42:43], v[92:95]// 000000005A10: D3F3005C 1D72554A
	s_add_u32 s20, s57, s20                                    // 000000005A18: 80141439
	s_addc_u32 s21, 0, s21                                     // 000000005A1C: 82151580
	v_mfma_f32_16x16x32_fp8_fp8 v[92:95], a[76:77], a[44:45], v[92:95]// 000000005A20: D3F3005C 1D72594C
	s_add_u32 s84, s83, s84                                    // 000000005A28: 80545453
	s_addc_u32 s85, 0, s85                                     // 000000005A2C: 82555580
	v_mfma_f32_16x16x32_fp8_fp8 v[92:95], a[78:79], a[46:47], v[92:95]// 000000005A30: D3F3005C 1D725D4E
	s_addk_i32 s80, 0x80                                       // 000000005A38: B7500080
	s_cmp_lt_i32 s80, s81                                      // 000000005A3C: BF045150
	s_cbranch_scc0 label_0C15                                  // 000000005A40: BF840001
	s_branch label_0ABC                                        // 000000005A44: BF82FEA7

0000000000005a48 <label_0C15>:
	v_mul_f32_dpp v48, v24, v48 row_newbcast:0 row_mask:0xf bank_mask:0xf// 000000005A48: 0A6060FA FF015018
	v_mul_f32_dpp v49, v24, v49 row_newbcast:1 row_mask:0xf bank_mask:0xf// 000000005A50: 0A6262FA FF015118
	v_mul_f32_dpp v50, v24, v50 row_newbcast:2 row_mask:0xf bank_mask:0xf// 000000005A58: 0A6464FA FF015218
	v_mul_f32_dpp v51, v24, v51 row_newbcast:3 row_mask:0xf bank_mask:0xf// 000000005A60: 0A6666FA FF015318
	v_mul_f32_dpp v52, v24, v52 row_newbcast:0 row_mask:0xf bank_mask:0xf// 000000005A68: 0A6868FA FF015018
	v_mul_f32_dpp v53, v24, v53 row_newbcast:1 row_mask:0xf bank_mask:0xf// 000000005A70: 0A6A6AFA FF015118
	v_mul_f32_dpp v54, v24, v54 row_newbcast:2 row_mask:0xf bank_mask:0xf// 000000005A78: 0A6C6CFA FF015218
	v_mul_f32_dpp v55, v24, v55 row_newbcast:3 row_mask:0xf bank_mask:0xf// 000000005A80: 0A6E6EFA FF015318
	v_mul_f32_dpp v56, v24, v56 row_newbcast:0 row_mask:0xf bank_mask:0xf// 000000005A88: 0A7070FA FF015018
	v_mul_f32_dpp v57, v24, v57 row_newbcast:1 row_mask:0xf bank_mask:0xf// 000000005A90: 0A7272FA FF015118
	v_mul_f32_dpp v58, v24, v58 row_newbcast:2 row_mask:0xf bank_mask:0xf// 000000005A98: 0A7474FA FF015218
	v_mul_f32_dpp v59, v24, v59 row_newbcast:3 row_mask:0xf bank_mask:0xf// 000000005AA0: 0A7676FA FF015318
	v_mul_f32_dpp v60, v24, v60 row_newbcast:4 row_mask:0xf bank_mask:0xf// 000000005AA8: 0A7878FA FF015418
	v_mul_f32_dpp v61, v24, v61 row_newbcast:5 row_mask:0xf bank_mask:0xf// 000000005AB0: 0A7A7AFA FF015518
	v_mul_f32_dpp v62, v24, v62 row_newbcast:6 row_mask:0xf bank_mask:0xf// 000000005AB8: 0A7C7CFA FF015618
	v_mul_f32_dpp v63, v24, v63 row_newbcast:7 row_mask:0xf bank_mask:0xf// 000000005AC0: 0A7E7EFA FF015718
	v_mul_f32_dpp v64, v24, v64 row_newbcast:4 row_mask:0xf bank_mask:0xf// 000000005AC8: 0A8080FA FF015418
	v_mul_f32_dpp v65, v24, v65 row_newbcast:5 row_mask:0xf bank_mask:0xf// 000000005AD0: 0A8282FA FF015518
	v_mul_f32_dpp v66, v24, v66 row_newbcast:6 row_mask:0xf bank_mask:0xf// 000000005AD8: 0A8484FA FF015618
	v_mul_f32_dpp v67, v24, v67 row_newbcast:7 row_mask:0xf bank_mask:0xf// 000000005AE0: 0A8686FA FF015718
	v_mul_f32_dpp v68, v24, v68 row_newbcast:4 row_mask:0xf bank_mask:0xf// 000000005AE8: 0A8888FA FF015418
	v_mul_f32_dpp v69, v24, v69 row_newbcast:5 row_mask:0xf bank_mask:0xf// 000000005AF0: 0A8A8AFA FF015518
	v_mul_f32_dpp v70, v24, v70 row_newbcast:6 row_mask:0xf bank_mask:0xf// 000000005AF8: 0A8C8CFA FF015618
	v_mul_f32_dpp v71, v24, v71 row_newbcast:7 row_mask:0xf bank_mask:0xf// 000000005B00: 0A8E8EFA FF015718
	v_mul_f32_dpp v72, v26, v72 row_newbcast:0 row_mask:0xf bank_mask:0xf// 000000005B08: 0A9090FA FF01501A
	v_mul_f32_dpp v73, v26, v73 row_newbcast:1 row_mask:0xf bank_mask:0xf// 000000005B10: 0A9292FA FF01511A
	v_mul_f32_dpp v74, v26, v74 row_newbcast:2 row_mask:0xf bank_mask:0xf// 000000005B18: 0A9494FA FF01521A
	v_mul_f32_dpp v75, v26, v75 row_newbcast:3 row_mask:0xf bank_mask:0xf// 000000005B20: 0A9696FA FF01531A
	v_mul_f32_dpp v76, v26, v76 row_newbcast:0 row_mask:0xf bank_mask:0xf// 000000005B28: 0A9898FA FF01501A
	v_mul_f32_dpp v77, v26, v77 row_newbcast:1 row_mask:0xf bank_mask:0xf// 000000005B30: 0A9A9AFA FF01511A
	v_mul_f32_dpp v78, v26, v78 row_newbcast:2 row_mask:0xf bank_mask:0xf// 000000005B38: 0A9C9CFA FF01521A
	v_mul_f32_dpp v79, v26, v79 row_newbcast:3 row_mask:0xf bank_mask:0xf// 000000005B40: 0A9E9EFA FF01531A
	v_mul_f32_dpp v80, v26, v80 row_newbcast:0 row_mask:0xf bank_mask:0xf// 000000005B48: 0AA0A0FA FF01501A
	v_mul_f32_dpp v81, v26, v81 row_newbcast:1 row_mask:0xf bank_mask:0xf// 000000005B50: 0AA2A2FA FF01511A
	v_mul_f32_dpp v82, v26, v82 row_newbcast:2 row_mask:0xf bank_mask:0xf// 000000005B58: 0AA4A4FA FF01521A
	v_mul_f32_dpp v83, v26, v83 row_newbcast:3 row_mask:0xf bank_mask:0xf// 000000005B60: 0AA6A6FA FF01531A
	v_mul_f32_dpp v84, v26, v84 row_newbcast:4 row_mask:0xf bank_mask:0xf// 000000005B68: 0AA8A8FA FF01541A
	v_mul_f32_dpp v85, v26, v85 row_newbcast:5 row_mask:0xf bank_mask:0xf// 000000005B70: 0AAAAAFA FF01551A
	v_mul_f32_dpp v86, v26, v86 row_newbcast:6 row_mask:0xf bank_mask:0xf// 000000005B78: 0AACACFA FF01561A
	v_mul_f32_dpp v87, v26, v87 row_newbcast:7 row_mask:0xf bank_mask:0xf// 000000005B80: 0AAEAEFA FF01571A
	v_mul_f32_dpp v88, v26, v88 row_newbcast:4 row_mask:0xf bank_mask:0xf// 000000005B88: 0AB0B0FA FF01541A
	v_mul_f32_dpp v89, v26, v89 row_newbcast:5 row_mask:0xf bank_mask:0xf// 000000005B90: 0AB2B2FA FF01551A
	v_mul_f32_dpp v90, v26, v90 row_newbcast:6 row_mask:0xf bank_mask:0xf// 000000005B98: 0AB4B4FA FF01561A
	v_mul_f32_dpp v91, v26, v91 row_newbcast:7 row_mask:0xf bank_mask:0xf// 000000005BA0: 0AB6B6FA FF01571A
	v_mul_f32_dpp v92, v26, v92 row_newbcast:4 row_mask:0xf bank_mask:0xf// 000000005BA8: 0AB8B8FA FF01541A
	v_mul_f32_dpp v93, v26, v93 row_newbcast:5 row_mask:0xf bank_mask:0xf// 000000005BB0: 0ABABAFA FF01551A
	v_mul_f32_dpp v94, v26, v94 row_newbcast:6 row_mask:0xf bank_mask:0xf// 000000005BB8: 0ABCBCFA FF01561A
	v_mul_f32_dpp v95, v26, v95 row_newbcast:7 row_mask:0xf bank_mask:0xf// 000000005BC0: 0ABEBEFA FF01571A
	v_mov_b32_e32 v4, v31                                      // 000000005BC8: 7E08031F
	v_mov_b32_e32 v5, v4                                       // 000000005BCC: 7E0A0304
	v_pk_mul_f32 v[48:49], v[4:5], v[48:49]                    // 000000005BD0: D3B14030 18026104
	v_pk_mul_f32 v[72:73], v[4:5], v[72:73]                    // 000000005BD8: D3B14048 18029104
	v_pk_mul_f32 v[50:51], v[4:5], v[50:51]                    // 000000005BE0: D3B14032 18026504
	v_pk_mul_f32 v[74:75], v[4:5], v[74:75]                    // 000000005BE8: D3B1404A 18029504
	v_pk_mul_f32 v[60:61], v[4:5], v[60:61]                    // 000000005BF0: D3B1403C 18027904
	v_pk_mul_f32 v[84:85], v[4:5], v[84:85]                    // 000000005BF8: D3B14054 1802A904
	v_pk_mul_f32 v[62:63], v[4:5], v[62:63]                    // 000000005C00: D3B1403E 18027D04
	v_pk_mul_f32 v[86:87], v[4:5], v[86:87]                    // 000000005C08: D3B14056 1802AD04
	v_mov_b32_e32 v4, v32                                      // 000000005C10: 7E080320
	v_mov_b32_e32 v5, v4                                       // 000000005C14: 7E0A0304
	v_pk_mul_f32 v[52:53], v[4:5], v[52:53]                    // 000000005C18: D3B14034 18026904
	v_pk_mul_f32 v[76:77], v[4:5], v[76:77]                    // 000000005C20: D3B1404C 18029904
	v_pk_mul_f32 v[54:55], v[4:5], v[54:55]                    // 000000005C28: D3B14036 18026D04
	v_pk_mul_f32 v[78:79], v[4:5], v[78:79]                    // 000000005C30: D3B1404E 18029D04
	v_pk_mul_f32 v[64:65], v[4:5], v[64:65]                    // 000000005C38: D3B14040 18028104
	v_pk_mul_f32 v[88:89], v[4:5], v[88:89]                    // 000000005C40: D3B14058 1802B104
	v_pk_mul_f32 v[66:67], v[4:5], v[66:67]                    // 000000005C48: D3B14042 18028504
	v_pk_mul_f32 v[90:91], v[4:5], v[90:91]                    // 000000005C50: D3B1405A 1802B504
	v_mov_b32_e32 v4, v33                                      // 000000005C58: 7E080321
	v_mov_b32_e32 v5, v4                                       // 000000005C5C: 7E0A0304
	v_pk_mul_f32 v[56:57], v[4:5], v[56:57]                    // 000000005C60: D3B14038 18027104
	v_pk_mul_f32 v[80:81], v[4:5], v[80:81]                    // 000000005C68: D3B14050 1802A104
	v_pk_mul_f32 v[58:59], v[4:5], v[58:59]                    // 000000005C70: D3B1403A 18027504
	v_pk_mul_f32 v[82:83], v[4:5], v[82:83]                    // 000000005C78: D3B14052 1802A504
	v_pk_mul_f32 v[68:69], v[4:5], v[68:69]                    // 000000005C80: D3B14044 18028904
	v_pk_mul_f32 v[92:93], v[4:5], v[92:93]                    // 000000005C88: D3B1405C 1802B904
	v_pk_mul_f32 v[70:71], v[4:5], v[70:71]                    // 000000005C90: D3B14046 18028D04
	v_pk_mul_f32 v[94:95], v[4:5], v[94:95]                    // 000000005C98: D3B1405E 1802BD04
	s_cmp_eq_u32 s88, 0                                        // 000000005CA0: BF068058
	s_cbranch_scc0 label_1046                                  // 000000005CA4: BF840399
	s_cmp_eq_u32 s89, 0                                        // 000000005CA8: BF068059
	s_cbranch_scc1 label_0DA4                                  // 000000005CAC: BF8500F5
	v_mov_b32_e32 v8, v1                                       // 000000005CB0: 7E100301
	v_mov_b32_e32 v9, v1                                       // 000000005CB4: 7E120301
	s_mov_b32 s60, s6                                          // 000000005CB8: BEBC0006
	s_mov_b32 s61, s6                                          // 000000005CBC: BEBD0006
	v_pk_mul_f32 v[4:5], v[48:49], v[48:49]                    // 000000005CC0: D3B14004 18026130
	v_pk_mul_f32 v[6:7], v[50:51], v[50:51]                    // 000000005CC8: D3B14006 18026532
	v_pk_fma_f32 v[4:5], v[4:5], s[78:79], v[8:9]              // 000000005CD0: D3B04004 1C209D04
	v_pk_fma_f32 v[6:7], v[6:7], s[78:79], v[8:9]              // 000000005CD8: D3B04006 1C209D06
	v_pk_mul_f32 v[4:5], v[4:5], v[48:49]                      // 000000005CE0: D3B14004 18026104
	v_pk_mul_f32 v[6:7], v[6:7], v[50:51]                      // 000000005CE8: D3B14006 18026506
	v_pk_mul_f32 v[4:5], v[4:5], s[60:61]                      // 000000005CF0: D3B14004 18007904
	v_pk_mul_f32 v[6:7], v[6:7], s[60:61]                      // 000000005CF8: D3B14006 18007906
	v_exp_f32_e32 v4, v4                                       // 000000005D00: 7E084104
	v_exp_f32_e32 v5, v5                                       // 000000005D04: 7E0A4105
	v_exp_f32_e32 v6, v6                                       // 000000005D08: 7E0C4106
	v_exp_f32_e32 v7, v7                                       // 000000005D0C: 7E0E4107
	v_add_f32_e64 v4, v4, 1.0                                  // 000000005D10: D1010004 0001E504
	v_add_f32_e64 v5, v5, 1.0                                  // 000000005D18: D1010005 0001E505
	v_add_f32_e64 v6, v6, 1.0                                  // 000000005D20: D1010006 0001E506
	v_add_f32_e64 v7, v7, 1.0                                  // 000000005D28: D1010007 0001E507
	v_rcp_f32_e32 v4, v4                                       // 000000005D30: 7E084504
	v_rcp_f32_e32 v5, v5                                       // 000000005D34: 7E0A4505
	v_rcp_f32_e32 v6, v6                                       // 000000005D38: 7E0C4506
	v_rcp_f32_e32 v7, v7                                       // 000000005D3C: 7E0E4507
	v_mul_f32_e32 v48, v48, v4                                 // 000000005D40: 0A600930
	v_mul_f32_e32 v49, v49, v5                                 // 000000005D44: 0A620B31
	v_mul_f32_e32 v50, v50, v6                                 // 000000005D48: 0A640D32
	v_mul_f32_e32 v51, v51, v7                                 // 000000005D4C: 0A660F33
	v_mul_f32_e32 v48, v48, v72                                // 000000005D50: 0A609130
	v_mul_f32_e32 v49, v49, v73                                // 000000005D54: 0A629331
	v_mul_f32_e32 v50, v50, v74                                // 000000005D58: 0A649532
	v_mul_f32_e32 v51, v51, v75                                // 000000005D5C: 0A669733
	v_pk_mul_f32 v[4:5], v[52:53], v[52:53]                    // 000000005D60: D3B14004 18026934
	v_pk_mul_f32 v[6:7], v[54:55], v[54:55]                    // 000000005D68: D3B14006 18026D36
	v_pk_fma_f32 v[4:5], v[4:5], s[78:79], v[8:9]              // 000000005D70: D3B04004 1C209D04
	v_pk_fma_f32 v[6:7], v[6:7], s[78:79], v[8:9]              // 000000005D78: D3B04006 1C209D06
	v_pk_mul_f32 v[4:5], v[4:5], v[52:53]                      // 000000005D80: D3B14004 18026904
	v_pk_mul_f32 v[6:7], v[6:7], v[54:55]                      // 000000005D88: D3B14006 18026D06
	v_pk_mul_f32 v[4:5], v[4:5], s[60:61]                      // 000000005D90: D3B14004 18007904
	v_pk_mul_f32 v[6:7], v[6:7], s[60:61]                      // 000000005D98: D3B14006 18007906
	v_exp_f32_e32 v4, v4                                       // 000000005DA0: 7E084104
	v_exp_f32_e32 v5, v5                                       // 000000005DA4: 7E0A4105
	v_exp_f32_e32 v6, v6                                       // 000000005DA8: 7E0C4106
	v_exp_f32_e32 v7, v7                                       // 000000005DAC: 7E0E4107
	v_add_f32_e64 v4, v4, 1.0                                  // 000000005DB0: D1010004 0001E504
	v_add_f32_e64 v5, v5, 1.0                                  // 000000005DB8: D1010005 0001E505
	v_add_f32_e64 v6, v6, 1.0                                  // 000000005DC0: D1010006 0001E506
	v_add_f32_e64 v7, v7, 1.0                                  // 000000005DC8: D1010007 0001E507
	v_rcp_f32_e32 v4, v4                                       // 000000005DD0: 7E084504
	v_rcp_f32_e32 v5, v5                                       // 000000005DD4: 7E0A4505
	v_rcp_f32_e32 v6, v6                                       // 000000005DD8: 7E0C4506
	v_rcp_f32_e32 v7, v7                                       // 000000005DDC: 7E0E4507
	v_mul_f32_e32 v52, v52, v4                                 // 000000005DE0: 0A680934
	v_mul_f32_e32 v53, v53, v5                                 // 000000005DE4: 0A6A0B35
	v_mul_f32_e32 v54, v54, v6                                 // 000000005DE8: 0A6C0D36
	v_mul_f32_e32 v55, v55, v7                                 // 000000005DEC: 0A6E0F37
	v_mul_f32_e32 v52, v52, v76                                // 000000005DF0: 0A689934
	v_mul_f32_e32 v53, v53, v77                                // 000000005DF4: 0A6A9B35
	v_mul_f32_e32 v54, v54, v78                                // 000000005DF8: 0A6C9D36
	v_mul_f32_e32 v55, v55, v79                                // 000000005DFC: 0A6E9F37
	v_pk_mul_f32 v[4:5], v[56:57], v[56:57]                    // 000000005E00: D3B14004 18027138
	v_pk_mul_f32 v[6:7], v[58:59], v[58:59]                    // 000000005E08: D3B14006 1802753A
	v_pk_fma_f32 v[4:5], v[4:5], s[78:79], v[8:9]              // 000000005E10: D3B04004 1C209D04
	v_pk_fma_f32 v[6:7], v[6:7], s[78:79], v[8:9]              // 000000005E18: D3B04006 1C209D06
	v_pk_mul_f32 v[4:5], v[4:5], v[56:57]                      // 000000005E20: D3B14004 18027104
	v_pk_mul_f32 v[6:7], v[6:7], v[58:59]                      // 000000005E28: D3B14006 18027506
	v_pk_mul_f32 v[4:5], v[4:5], s[60:61]                      // 000000005E30: D3B14004 18007904
	v_pk_mul_f32 v[6:7], v[6:7], s[60:61]                      // 000000005E38: D3B14006 18007906
	v_exp_f32_e32 v4, v4                                       // 000000005E40: 7E084104
	v_exp_f32_e32 v5, v5                                       // 000000005E44: 7E0A4105
	v_exp_f32_e32 v6, v6                                       // 000000005E48: 7E0C4106
	v_exp_f32_e32 v7, v7                                       // 000000005E4C: 7E0E4107
	v_add_f32_e64 v4, v4, 1.0                                  // 000000005E50: D1010004 0001E504
	v_add_f32_e64 v5, v5, 1.0                                  // 000000005E58: D1010005 0001E505
	v_add_f32_e64 v6, v6, 1.0                                  // 000000005E60: D1010006 0001E506
	v_add_f32_e64 v7, v7, 1.0                                  // 000000005E68: D1010007 0001E507
	v_rcp_f32_e32 v4, v4                                       // 000000005E70: 7E084504
	v_rcp_f32_e32 v5, v5                                       // 000000005E74: 7E0A4505
	v_rcp_f32_e32 v6, v6                                       // 000000005E78: 7E0C4506
	v_rcp_f32_e32 v7, v7                                       // 000000005E7C: 7E0E4507
	v_mul_f32_e32 v56, v56, v4                                 // 000000005E80: 0A700938
	v_mul_f32_e32 v57, v57, v5                                 // 000000005E84: 0A720B39
	v_mul_f32_e32 v58, v58, v6                                 // 000000005E88: 0A740D3A
	v_mul_f32_e32 v59, v59, v7                                 // 000000005E8C: 0A760F3B
	v_mul_f32_e32 v56, v56, v80                                // 000000005E90: 0A70A138
	v_mul_f32_e32 v57, v57, v81                                // 000000005E94: 0A72A339
	v_mul_f32_e32 v58, v58, v82                                // 000000005E98: 0A74A53A
	v_mul_f32_e32 v59, v59, v83                                // 000000005E9C: 0A76A73B
	v_pk_mul_f32 v[4:5], v[60:61], v[60:61]                    // 000000005EA0: D3B14004 1802793C
	v_pk_mul_f32 v[6:7], v[62:63], v[62:63]                    // 000000005EA8: D3B14006 18027D3E
	v_pk_fma_f32 v[4:5], v[4:5], s[78:79], v[8:9]              // 000000005EB0: D3B04004 1C209D04
	v_pk_fma_f32 v[6:7], v[6:7], s[78:79], v[8:9]              // 000000005EB8: D3B04006 1C209D06
	v_pk_mul_f32 v[4:5], v[4:5], v[60:61]                      // 000000005EC0: D3B14004 18027904
	v_pk_mul_f32 v[6:7], v[6:7], v[62:63]                      // 000000005EC8: D3B14006 18027D06
	v_pk_mul_f32 v[4:5], v[4:5], s[60:61]                      // 000000005ED0: D3B14004 18007904
	v_pk_mul_f32 v[6:7], v[6:7], s[60:61]                      // 000000005ED8: D3B14006 18007906
	v_exp_f32_e32 v4, v4                                       // 000000005EE0: 7E084104
	v_exp_f32_e32 v5, v5                                       // 000000005EE4: 7E0A4105
	v_exp_f32_e32 v6, v6                                       // 000000005EE8: 7E0C4106
	v_exp_f32_e32 v7, v7                                       // 000000005EEC: 7E0E4107
	v_add_f32_e64 v4, v4, 1.0                                  // 000000005EF0: D1010004 0001E504
	v_add_f32_e64 v5, v5, 1.0                                  // 000000005EF8: D1010005 0001E505
	v_add_f32_e64 v6, v6, 1.0                                  // 000000005F00: D1010006 0001E506
	v_add_f32_e64 v7, v7, 1.0                                  // 000000005F08: D1010007 0001E507
	v_rcp_f32_e32 v4, v4                                       // 000000005F10: 7E084504
	v_rcp_f32_e32 v5, v5                                       // 000000005F14: 7E0A4505
	v_rcp_f32_e32 v6, v6                                       // 000000005F18: 7E0C4506
	v_rcp_f32_e32 v7, v7                                       // 000000005F1C: 7E0E4507
	v_mul_f32_e32 v60, v60, v4                                 // 000000005F20: 0A78093C
	v_mul_f32_e32 v61, v61, v5                                 // 000000005F24: 0A7A0B3D
	v_mul_f32_e32 v62, v62, v6                                 // 000000005F28: 0A7C0D3E
	v_mul_f32_e32 v63, v63, v7                                 // 000000005F2C: 0A7E0F3F
	v_mul_f32_e32 v60, v60, v84                                // 000000005F30: 0A78A93C
	v_mul_f32_e32 v61, v61, v85                                // 000000005F34: 0A7AAB3D
	v_mul_f32_e32 v62, v62, v86                                // 000000005F38: 0A7CAD3E
	v_mul_f32_e32 v63, v63, v87                                // 000000005F3C: 0A7EAF3F
	v_pk_mul_f32 v[4:5], v[64:65], v[64:65]                    // 000000005F40: D3B14004 18028140
	v_pk_mul_f32 v[6:7], v[66:67], v[66:67]                    // 000000005F48: D3B14006 18028542
	v_pk_fma_f32 v[4:5], v[4:5], s[78:79], v[8:9]              // 000000005F50: D3B04004 1C209D04
	v_pk_fma_f32 v[6:7], v[6:7], s[78:79], v[8:9]              // 000000005F58: D3B04006 1C209D06
	v_pk_mul_f32 v[4:5], v[4:5], v[64:65]                      // 000000005F60: D3B14004 18028104
	v_pk_mul_f32 v[6:7], v[6:7], v[66:67]                      // 000000005F68: D3B14006 18028506
	v_pk_mul_f32 v[4:5], v[4:5], s[60:61]                      // 000000005F70: D3B14004 18007904
	v_pk_mul_f32 v[6:7], v[6:7], s[60:61]                      // 000000005F78: D3B14006 18007906
	v_exp_f32_e32 v4, v4                                       // 000000005F80: 7E084104
	v_exp_f32_e32 v5, v5                                       // 000000005F84: 7E0A4105
	v_exp_f32_e32 v6, v6                                       // 000000005F88: 7E0C4106
	v_exp_f32_e32 v7, v7                                       // 000000005F8C: 7E0E4107
	v_add_f32_e64 v4, v4, 1.0                                  // 000000005F90: D1010004 0001E504
	v_add_f32_e64 v5, v5, 1.0                                  // 000000005F98: D1010005 0001E505
	v_add_f32_e64 v6, v6, 1.0                                  // 000000005FA0: D1010006 0001E506
	v_add_f32_e64 v7, v7, 1.0                                  // 000000005FA8: D1010007 0001E507
	v_rcp_f32_e32 v4, v4                                       // 000000005FB0: 7E084504
	v_rcp_f32_e32 v5, v5                                       // 000000005FB4: 7E0A4505
	v_rcp_f32_e32 v6, v6                                       // 000000005FB8: 7E0C4506
	v_rcp_f32_e32 v7, v7                                       // 000000005FBC: 7E0E4507
	v_mul_f32_e32 v64, v64, v4                                 // 000000005FC0: 0A800940
	v_mul_f32_e32 v65, v65, v5                                 // 000000005FC4: 0A820B41
	v_mul_f32_e32 v66, v66, v6                                 // 000000005FC8: 0A840D42
	v_mul_f32_e32 v67, v67, v7                                 // 000000005FCC: 0A860F43
	v_mul_f32_e32 v64, v64, v88                                // 000000005FD0: 0A80B140
	v_mul_f32_e32 v65, v65, v89                                // 000000005FD4: 0A82B341
	v_mul_f32_e32 v66, v66, v90                                // 000000005FD8: 0A84B542
	v_mul_f32_e32 v67, v67, v91                                // 000000005FDC: 0A86B743
	v_pk_mul_f32 v[4:5], v[68:69], v[68:69]                    // 000000005FE0: D3B14004 18028944
	v_pk_mul_f32 v[6:7], v[70:71], v[70:71]                    // 000000005FE8: D3B14006 18028D46
	v_pk_fma_f32 v[4:5], v[4:5], s[78:79], v[8:9]              // 000000005FF0: D3B04004 1C209D04
	v_pk_fma_f32 v[6:7], v[6:7], s[78:79], v[8:9]              // 000000005FF8: D3B04006 1C209D06
	v_pk_mul_f32 v[4:5], v[4:5], v[68:69]                      // 000000006000: D3B14004 18028904
	v_pk_mul_f32 v[6:7], v[6:7], v[70:71]                      // 000000006008: D3B14006 18028D06
	v_pk_mul_f32 v[4:5], v[4:5], s[60:61]                      // 000000006010: D3B14004 18007904
	v_pk_mul_f32 v[6:7], v[6:7], s[60:61]                      // 000000006018: D3B14006 18007906
	v_exp_f32_e32 v4, v4                                       // 000000006020: 7E084104
	v_exp_f32_e32 v5, v5                                       // 000000006024: 7E0A4105
	v_exp_f32_e32 v6, v6                                       // 000000006028: 7E0C4106
	v_exp_f32_e32 v7, v7                                       // 00000000602C: 7E0E4107
	v_add_f32_e64 v4, v4, 1.0                                  // 000000006030: D1010004 0001E504
	v_add_f32_e64 v5, v5, 1.0                                  // 000000006038: D1010005 0001E505
	v_add_f32_e64 v6, v6, 1.0                                  // 000000006040: D1010006 0001E506
	v_add_f32_e64 v7, v7, 1.0                                  // 000000006048: D1010007 0001E507
	v_rcp_f32_e32 v4, v4                                       // 000000006050: 7E084504
	v_rcp_f32_e32 v5, v5                                       // 000000006054: 7E0A4505
	v_rcp_f32_e32 v6, v6                                       // 000000006058: 7E0C4506
	v_rcp_f32_e32 v7, v7                                       // 00000000605C: 7E0E4507
	v_mul_f32_e32 v68, v68, v4                                 // 000000006060: 0A880944
	v_mul_f32_e32 v69, v69, v5                                 // 000000006064: 0A8A0B45
	v_mul_f32_e32 v70, v70, v6                                 // 000000006068: 0A8C0D46
	v_mul_f32_e32 v71, v71, v7                                 // 00000000606C: 0A8E0F47
	v_mul_f32_e32 v68, v68, v92                                // 000000006070: 0A88B944
	v_mul_f32_e32 v69, v69, v93                                // 000000006074: 0A8ABB45
	v_mul_f32_e32 v70, v70, v94                                // 000000006078: 0A8CBD46
	v_mul_f32_e32 v71, v71, v95                                // 00000000607C: 0A8EBF47
	s_branch label_0E64                                        // 000000006080: BF8200C0

0000000000006084 <label_0DA4>:
	v_mul_f32_e64 v4, -v48, s6                                 // 000000006084: D1050004 20000D30
	v_mul_f32_e64 v5, -v49, s6                                 // 00000000608C: D1050005 20000D31
	v_mul_f32_e64 v6, -v50, s6                                 // 000000006094: D1050006 20000D32
	v_mul_f32_e64 v7, -v51, s6                                 // 00000000609C: D1050007 20000D33
	v_exp_f32_e32 v4, v4                                       // 0000000060A4: 7E084104
	v_exp_f32_e32 v5, v5                                       // 0000000060A8: 7E0A4105
	v_exp_f32_e32 v6, v6                                       // 0000000060AC: 7E0C4106
	v_exp_f32_e32 v7, v7                                       // 0000000060B0: 7E0E4107
	v_add_f32_e64 v4, v4, 1.0                                  // 0000000060B4: D1010004 0001E504
	v_add_f32_e64 v5, v5, 1.0                                  // 0000000060BC: D1010005 0001E505
	v_add_f32_e64 v6, v6, 1.0                                  // 0000000060C4: D1010006 0001E506
	v_add_f32_e64 v7, v7, 1.0                                  // 0000000060CC: D1010007 0001E507
	v_rcp_f32_e32 v4, v4                                       // 0000000060D4: 7E084504
	v_rcp_f32_e32 v5, v5                                       // 0000000060D8: 7E0A4505
	v_rcp_f32_e32 v6, v6                                       // 0000000060DC: 7E0C4506
	v_rcp_f32_e32 v7, v7                                       // 0000000060E0: 7E0E4507
	v_mul_f32_e32 v48, v48, v4                                 // 0000000060E4: 0A600930
	v_mul_f32_e32 v49, v49, v5                                 // 0000000060E8: 0A620B31
	v_mul_f32_e32 v50, v50, v6                                 // 0000000060EC: 0A640D32
	v_mul_f32_e32 v51, v51, v7                                 // 0000000060F0: 0A660F33
	v_mul_f32_e32 v48, v48, v72                                // 0000000060F4: 0A609130
	v_mul_f32_e32 v49, v49, v73                                // 0000000060F8: 0A629331
	v_mul_f32_e32 v50, v50, v74                                // 0000000060FC: 0A649532
	v_mul_f32_e32 v51, v51, v75                                // 000000006100: 0A669733
	v_mul_f32_e64 v4, -v52, s6                                 // 000000006104: D1050004 20000D34
	v_mul_f32_e64 v5, -v53, s6                                 // 00000000610C: D1050005 20000D35
	v_mul_f32_e64 v6, -v54, s6                                 // 000000006114: D1050006 20000D36
	v_mul_f32_e64 v7, -v55, s6                                 // 00000000611C: D1050007 20000D37
	v_exp_f32_e32 v4, v4                                       // 000000006124: 7E084104
	v_exp_f32_e32 v5, v5                                       // 000000006128: 7E0A4105
	v_exp_f32_e32 v6, v6                                       // 00000000612C: 7E0C4106
	v_exp_f32_e32 v7, v7                                       // 000000006130: 7E0E4107
	v_add_f32_e64 v4, v4, 1.0                                  // 000000006134: D1010004 0001E504
	v_add_f32_e64 v5, v5, 1.0                                  // 00000000613C: D1010005 0001E505
	v_add_f32_e64 v6, v6, 1.0                                  // 000000006144: D1010006 0001E506
	v_add_f32_e64 v7, v7, 1.0                                  // 00000000614C: D1010007 0001E507
	v_rcp_f32_e32 v4, v4                                       // 000000006154: 7E084504
	v_rcp_f32_e32 v5, v5                                       // 000000006158: 7E0A4505
	v_rcp_f32_e32 v6, v6                                       // 00000000615C: 7E0C4506
	v_rcp_f32_e32 v7, v7                                       // 000000006160: 7E0E4507
	v_mul_f32_e32 v52, v52, v4                                 // 000000006164: 0A680934
	v_mul_f32_e32 v53, v53, v5                                 // 000000006168: 0A6A0B35
	v_mul_f32_e32 v54, v54, v6                                 // 00000000616C: 0A6C0D36
	v_mul_f32_e32 v55, v55, v7                                 // 000000006170: 0A6E0F37
	v_mul_f32_e32 v52, v52, v76                                // 000000006174: 0A689934
	v_mul_f32_e32 v53, v53, v77                                // 000000006178: 0A6A9B35
	v_mul_f32_e32 v54, v54, v78                                // 00000000617C: 0A6C9D36
	v_mul_f32_e32 v55, v55, v79                                // 000000006180: 0A6E9F37
	v_mul_f32_e64 v4, -v56, s6                                 // 000000006184: D1050004 20000D38
	v_mul_f32_e64 v5, -v57, s6                                 // 00000000618C: D1050005 20000D39
	v_mul_f32_e64 v6, -v58, s6                                 // 000000006194: D1050006 20000D3A
	v_mul_f32_e64 v7, -v59, s6                                 // 00000000619C: D1050007 20000D3B
	v_exp_f32_e32 v4, v4                                       // 0000000061A4: 7E084104
	v_exp_f32_e32 v5, v5                                       // 0000000061A8: 7E0A4105
	v_exp_f32_e32 v6, v6                                       // 0000000061AC: 7E0C4106
	v_exp_f32_e32 v7, v7                                       // 0000000061B0: 7E0E4107
	v_add_f32_e64 v4, v4, 1.0                                  // 0000000061B4: D1010004 0001E504
	v_add_f32_e64 v5, v5, 1.0                                  // 0000000061BC: D1010005 0001E505
	v_add_f32_e64 v6, v6, 1.0                                  // 0000000061C4: D1010006 0001E506
	v_add_f32_e64 v7, v7, 1.0                                  // 0000000061CC: D1010007 0001E507
	v_rcp_f32_e32 v4, v4                                       // 0000000061D4: 7E084504
	v_rcp_f32_e32 v5, v5                                       // 0000000061D8: 7E0A4505
	v_rcp_f32_e32 v6, v6                                       // 0000000061DC: 7E0C4506
	v_rcp_f32_e32 v7, v7                                       // 0000000061E0: 7E0E4507
	v_mul_f32_e32 v56, v56, v4                                 // 0000000061E4: 0A700938
	v_mul_f32_e32 v57, v57, v5                                 // 0000000061E8: 0A720B39
	v_mul_f32_e32 v58, v58, v6                                 // 0000000061EC: 0A740D3A
	v_mul_f32_e32 v59, v59, v7                                 // 0000000061F0: 0A760F3B
	v_mul_f32_e32 v56, v56, v80                                // 0000000061F4: 0A70A138
	v_mul_f32_e32 v57, v57, v81                                // 0000000061F8: 0A72A339
	v_mul_f32_e32 v58, v58, v82                                // 0000000061FC: 0A74A53A
	v_mul_f32_e32 v59, v59, v83                                // 000000006200: 0A76A73B
	v_mul_f32_e64 v4, -v60, s6                                 // 000000006204: D1050004 20000D3C
	v_mul_f32_e64 v5, -v61, s6                                 // 00000000620C: D1050005 20000D3D
	v_mul_f32_e64 v6, -v62, s6                                 // 000000006214: D1050006 20000D3E
	v_mul_f32_e64 v7, -v63, s6                                 // 00000000621C: D1050007 20000D3F
	v_exp_f32_e32 v4, v4                                       // 000000006224: 7E084104
	v_exp_f32_e32 v5, v5                                       // 000000006228: 7E0A4105
	v_exp_f32_e32 v6, v6                                       // 00000000622C: 7E0C4106
	v_exp_f32_e32 v7, v7                                       // 000000006230: 7E0E4107
	v_add_f32_e64 v4, v4, 1.0                                  // 000000006234: D1010004 0001E504
	v_add_f32_e64 v5, v5, 1.0                                  // 00000000623C: D1010005 0001E505
	v_add_f32_e64 v6, v6, 1.0                                  // 000000006244: D1010006 0001E506
	v_add_f32_e64 v7, v7, 1.0                                  // 00000000624C: D1010007 0001E507
	v_rcp_f32_e32 v4, v4                                       // 000000006254: 7E084504
	v_rcp_f32_e32 v5, v5                                       // 000000006258: 7E0A4505
	v_rcp_f32_e32 v6, v6                                       // 00000000625C: 7E0C4506
	v_rcp_f32_e32 v7, v7                                       // 000000006260: 7E0E4507
	v_mul_f32_e32 v60, v60, v4                                 // 000000006264: 0A78093C
	v_mul_f32_e32 v61, v61, v5                                 // 000000006268: 0A7A0B3D
	v_mul_f32_e32 v62, v62, v6                                 // 00000000626C: 0A7C0D3E
	v_mul_f32_e32 v63, v63, v7                                 // 000000006270: 0A7E0F3F
	v_mul_f32_e32 v60, v60, v84                                // 000000006274: 0A78A93C
	v_mul_f32_e32 v61, v61, v85                                // 000000006278: 0A7AAB3D
	v_mul_f32_e32 v62, v62, v86                                // 00000000627C: 0A7CAD3E
	v_mul_f32_e32 v63, v63, v87                                // 000000006280: 0A7EAF3F
	v_mul_f32_e64 v4, -v64, s6                                 // 000000006284: D1050004 20000D40
	v_mul_f32_e64 v5, -v65, s6                                 // 00000000628C: D1050005 20000D41
	v_mul_f32_e64 v6, -v66, s6                                 // 000000006294: D1050006 20000D42
	v_mul_f32_e64 v7, -v67, s6                                 // 00000000629C: D1050007 20000D43
	v_exp_f32_e32 v4, v4                                       // 0000000062A4: 7E084104
	v_exp_f32_e32 v5, v5                                       // 0000000062A8: 7E0A4105
	v_exp_f32_e32 v6, v6                                       // 0000000062AC: 7E0C4106
	v_exp_f32_e32 v7, v7                                       // 0000000062B0: 7E0E4107
	v_add_f32_e64 v4, v4, 1.0                                  // 0000000062B4: D1010004 0001E504
	v_add_f32_e64 v5, v5, 1.0                                  // 0000000062BC: D1010005 0001E505
	v_add_f32_e64 v6, v6, 1.0                                  // 0000000062C4: D1010006 0001E506
	v_add_f32_e64 v7, v7, 1.0                                  // 0000000062CC: D1010007 0001E507
	v_rcp_f32_e32 v4, v4                                       // 0000000062D4: 7E084504
	v_rcp_f32_e32 v5, v5                                       // 0000000062D8: 7E0A4505
	v_rcp_f32_e32 v6, v6                                       // 0000000062DC: 7E0C4506
	v_rcp_f32_e32 v7, v7                                       // 0000000062E0: 7E0E4507
	v_mul_f32_e32 v64, v64, v4                                 // 0000000062E4: 0A800940
	v_mul_f32_e32 v65, v65, v5                                 // 0000000062E8: 0A820B41
	v_mul_f32_e32 v66, v66, v6                                 // 0000000062EC: 0A840D42
	v_mul_f32_e32 v67, v67, v7                                 // 0000000062F0: 0A860F43
	v_mul_f32_e32 v64, v64, v88                                // 0000000062F4: 0A80B140
	v_mul_f32_e32 v65, v65, v89                                // 0000000062F8: 0A82B341
	v_mul_f32_e32 v66, v66, v90                                // 0000000062FC: 0A84B542
	v_mul_f32_e32 v67, v67, v91                                // 000000006300: 0A86B743
	v_mul_f32_e64 v4, -v68, s6                                 // 000000006304: D1050004 20000D44
	v_mul_f32_e64 v5, -v69, s6                                 // 00000000630C: D1050005 20000D45
	v_mul_f32_e64 v6, -v70, s6                                 // 000000006314: D1050006 20000D46
	v_mul_f32_e64 v7, -v71, s6                                 // 00000000631C: D1050007 20000D47
	v_exp_f32_e32 v4, v4                                       // 000000006324: 7E084104
	v_exp_f32_e32 v5, v5                                       // 000000006328: 7E0A4105
	v_exp_f32_e32 v6, v6                                       // 00000000632C: 7E0C4106
	v_exp_f32_e32 v7, v7                                       // 000000006330: 7E0E4107
	v_add_f32_e64 v4, v4, 1.0                                  // 000000006334: D1010004 0001E504
	v_add_f32_e64 v5, v5, 1.0                                  // 00000000633C: D1010005 0001E505
	v_add_f32_e64 v6, v6, 1.0                                  // 000000006344: D1010006 0001E506
	v_add_f32_e64 v7, v7, 1.0                                  // 00000000634C: D1010007 0001E507
	v_rcp_f32_e32 v4, v4                                       // 000000006354: 7E084504
	v_rcp_f32_e32 v5, v5                                       // 000000006358: 7E0A4505
	v_rcp_f32_e32 v6, v6                                       // 00000000635C: 7E0C4506
	v_rcp_f32_e32 v7, v7                                       // 000000006360: 7E0E4507
	v_mul_f32_e32 v68, v68, v4                                 // 000000006364: 0A880944
	v_mul_f32_e32 v69, v69, v5                                 // 000000006368: 0A8A0B45
	v_mul_f32_e32 v70, v70, v6                                 // 00000000636C: 0A8C0D46
	v_mul_f32_e32 v71, v71, v7                                 // 000000006370: 0A8E0F47
	v_mul_f32_e32 v68, v68, v92                                // 000000006374: 0A88B944
	v_mul_f32_e32 v69, v69, v93                                // 000000006378: 0A8ABB45
	v_mul_f32_e32 v70, v70, v94                                // 00000000637C: 0A8CBD46
	v_mul_f32_e32 v71, v71, v95                                // 000000006380: 0A8EBF47

0000000000006384 <label_0E64>:
	v_cmp_u_f32_e64 s[46:47], v48, v48                         // 000000006384: D048002E 00026130
	v_add3_u32 v16, v48, v19, 1                                // 00000000638C: D1FF0010 02062730
	v_cndmask_b32_e64 v4, v16, v18, s[46:47]                   // 000000006394: D1000004 00BA2510
	v_cmp_u_f32_e64 s[46:47], v49, v49                         // 00000000639C: D048002E 00026331
	v_add3_u32 v16, v49, v19, 1                                // 0000000063A4: D1FF0010 02062731
	v_cndmask_b32_e64 v5, v16, v18, s[46:47]                   // 0000000063AC: D1000005 00BA2510
	v_perm_b32 v48, v5, v4, s52                                // 0000000063B4: D1ED0030 00D20905
	v_cmp_u_f32_e64 s[46:47], v50, v50                         // 0000000063BC: D048002E 00026532
	v_add3_u32 v16, v50, v19, 1                                // 0000000063C4: D1FF0010 02062732
	v_cndmask_b32_e64 v4, v16, v18, s[46:47]                   // 0000000063CC: D1000004 00BA2510
	v_cmp_u_f32_e64 s[46:47], v51, v51                         // 0000000063D4: D048002E 00026733
	v_add3_u32 v16, v51, v19, 1                                // 0000000063DC: D1FF0010 02062733
	v_cndmask_b32_e64 v5, v16, v18, s[46:47]                   // 0000000063E4: D1000005 00BA2510
	v_perm_b32 v49, v5, v4, s52                                // 0000000063EC: D1ED0031 00D20905
	v_cmp_u_f32_e64 s[46:47], v52, v52                         // 0000000063F4: D048002E 00026934
	v_add3_u32 v16, v52, v19, 1                                // 0000000063FC: D1FF0010 02062734
	v_cndmask_b32_e64 v4, v16, v18, s[46:47]                   // 000000006404: D1000004 00BA2510
	v_cmp_u_f32_e64 s[46:47], v53, v53                         // 00000000640C: D048002E 00026B35
	v_add3_u32 v16, v53, v19, 1                                // 000000006414: D1FF0010 02062735
	v_cndmask_b32_e64 v5, v16, v18, s[46:47]                   // 00000000641C: D1000005 00BA2510
	v_perm_b32 v50, v5, v4, s52                                // 000000006424: D1ED0032 00D20905
	v_cmp_u_f32_e64 s[46:47], v54, v54                         // 00000000642C: D048002E 00026D36
	v_add3_u32 v16, v54, v19, 1                                // 000000006434: D1FF0010 02062736
	v_cndmask_b32_e64 v4, v16, v18, s[46:47]                   // 00000000643C: D1000004 00BA2510
	v_cmp_u_f32_e64 s[46:47], v55, v55                         // 000000006444: D048002E 00026F37
	v_add3_u32 v16, v55, v19, 1                                // 00000000644C: D1FF0010 02062737
	v_cndmask_b32_e64 v5, v16, v18, s[46:47]                   // 000000006454: D1000005 00BA2510
	v_perm_b32 v51, v5, v4, s52                                // 00000000645C: D1ED0033 00D20905
	v_cmp_u_f32_e64 s[46:47], v56, v56                         // 000000006464: D048002E 00027138
	v_add3_u32 v16, v56, v19, 1                                // 00000000646C: D1FF0010 02062738
	v_cndmask_b32_e64 v4, v16, v18, s[46:47]                   // 000000006474: D1000004 00BA2510
	v_cmp_u_f32_e64 s[46:47], v57, v57                         // 00000000647C: D048002E 00027339
	v_add3_u32 v16, v57, v19, 1                                // 000000006484: D1FF0010 02062739
	v_cndmask_b32_e64 v5, v16, v18, s[46:47]                   // 00000000648C: D1000005 00BA2510
	v_perm_b32 v52, v5, v4, s52                                // 000000006494: D1ED0034 00D20905
	v_cmp_u_f32_e64 s[46:47], v58, v58                         // 00000000649C: D048002E 0002753A
	v_add3_u32 v16, v58, v19, 1                                // 0000000064A4: D1FF0010 0206273A
	v_cndmask_b32_e64 v4, v16, v18, s[46:47]                   // 0000000064AC: D1000004 00BA2510
	v_cmp_u_f32_e64 s[46:47], v59, v59                         // 0000000064B4: D048002E 0002773B
	v_add3_u32 v16, v59, v19, 1                                // 0000000064BC: D1FF0010 0206273B
	v_cndmask_b32_e64 v5, v16, v18, s[46:47]                   // 0000000064C4: D1000005 00BA2510
	v_perm_b32 v53, v5, v4, s52                                // 0000000064CC: D1ED0035 00D20905
	v_cmp_u_f32_e64 s[46:47], v60, v60                         // 0000000064D4: D048002E 0002793C
	v_add3_u32 v16, v60, v19, 1                                // 0000000064DC: D1FF0010 0206273C
	v_cndmask_b32_e64 v4, v16, v18, s[46:47]                   // 0000000064E4: D1000004 00BA2510
	v_cmp_u_f32_e64 s[46:47], v61, v61                         // 0000000064EC: D048002E 00027B3D
	v_add3_u32 v16, v61, v19, 1                                // 0000000064F4: D1FF0010 0206273D
	v_cndmask_b32_e64 v5, v16, v18, s[46:47]                   // 0000000064FC: D1000005 00BA2510
	v_perm_b32 v54, v5, v4, s52                                // 000000006504: D1ED0036 00D20905
	v_cmp_u_f32_e64 s[46:47], v62, v62                         // 00000000650C: D048002E 00027D3E
	v_add3_u32 v16, v62, v19, 1                                // 000000006514: D1FF0010 0206273E
	v_cndmask_b32_e64 v4, v16, v18, s[46:47]                   // 00000000651C: D1000004 00BA2510
	v_cmp_u_f32_e64 s[46:47], v63, v63                         // 000000006524: D048002E 00027F3F
	v_add3_u32 v16, v63, v19, 1                                // 00000000652C: D1FF0010 0206273F
	v_cndmask_b32_e64 v5, v16, v18, s[46:47]                   // 000000006534: D1000005 00BA2510
	v_perm_b32 v55, v5, v4, s52                                // 00000000653C: D1ED0037 00D20905
	v_cmp_u_f32_e64 s[46:47], v64, v64                         // 000000006544: D048002E 00028140
	v_add3_u32 v16, v64, v19, 1                                // 00000000654C: D1FF0010 02062740
	v_cndmask_b32_e64 v4, v16, v18, s[46:47]                   // 000000006554: D1000004 00BA2510
	v_cmp_u_f32_e64 s[46:47], v65, v65                         // 00000000655C: D048002E 00028341
	v_add3_u32 v16, v65, v19, 1                                // 000000006564: D1FF0010 02062741
	v_cndmask_b32_e64 v5, v16, v18, s[46:47]                   // 00000000656C: D1000005 00BA2510
	v_perm_b32 v56, v5, v4, s52                                // 000000006574: D1ED0038 00D20905
	v_cmp_u_f32_e64 s[46:47], v66, v66                         // 00000000657C: D048002E 00028542
	v_add3_u32 v16, v66, v19, 1                                // 000000006584: D1FF0010 02062742
	v_cndmask_b32_e64 v4, v16, v18, s[46:47]                   // 00000000658C: D1000004 00BA2510
	v_cmp_u_f32_e64 s[46:47], v67, v67                         // 000000006594: D048002E 00028743
	v_add3_u32 v16, v67, v19, 1                                // 00000000659C: D1FF0010 02062743
	v_cndmask_b32_e64 v5, v16, v18, s[46:47]                   // 0000000065A4: D1000005 00BA2510
	v_perm_b32 v57, v5, v4, s52                                // 0000000065AC: D1ED0039 00D20905
	v_cmp_u_f32_e64 s[46:47], v68, v68                         // 0000000065B4: D048002E 00028944
	v_add3_u32 v16, v68, v19, 1                                // 0000000065BC: D1FF0010 02062744
	v_cndmask_b32_e64 v4, v16, v18, s[46:47]                   // 0000000065C4: D1000004 00BA2510
	v_cmp_u_f32_e64 s[46:47], v69, v69                         // 0000000065CC: D048002E 00028B45
	v_add3_u32 v16, v69, v19, 1                                // 0000000065D4: D1FF0010 02062745
	v_cndmask_b32_e64 v5, v16, v18, s[46:47]                   // 0000000065DC: D1000005 00BA2510
	v_perm_b32 v58, v5, v4, s52                                // 0000000065E4: D1ED003A 00D20905
	v_cmp_u_f32_e64 s[46:47], v70, v70                         // 0000000065EC: D048002E 00028D46
	v_add3_u32 v16, v70, v19, 1                                // 0000000065F4: D1FF0010 02062746
	v_cndmask_b32_e64 v4, v16, v18, s[46:47]                   // 0000000065FC: D1000004 00BA2510
	v_cmp_u_f32_e64 s[46:47], v71, v71                         // 000000006604: D048002E 00028F47
	v_add3_u32 v16, v71, v19, 1                                // 00000000660C: D1FF0010 02062747
	v_cndmask_b32_e64 v5, v16, v18, s[46:47]                   // 000000006614: D1000005 00BA2510
	v_perm_b32 v59, v5, v4, s52                                // 00000000661C: D1ED003B 00D20905
	ds_write_b64 v20, v[48:49]                                 // 000000006624: D89A0000 00003014
	ds_write_b64 v20, v[50:51] offset:4352                     // 00000000662C: D89A1100 00003214
	ds_write_b64 v20, v[52:53] offset:8704                     // 000000006634: D89A2200 00003414
	ds_write_b64 v20, v[54:55] offset:2176                     // 00000000663C: D89A0880 00003614
	ds_write_b64 v20, v[56:57] offset:6528                     // 000000006644: D89A1980 00003814
	ds_write_b64 v20, v[58:59] offset:10880                    // 00000000664C: D89A2A80 00003A14
	v_lshrrev_b32_e32 v4, 5, v0                                // 000000006654: 20080085
	v_xor_b32_e32 v5, 1, v4                                    // 000000006658: 2A0A0881
	s_mul_i32 s60, s65, 2                                      // 00000000665C: 923C8241
	s_cmp_eq_u32 s88, 0                                        // 000000006660: BF068058
	s_cselect_b32 s61, 1, 4                                    // 000000006664: 853D8481
	s_mul_i32 s60, s61, s60                                    // 000000006668: 923C3C3D
	v_readlane_b32 s82, v3, 0                                  // 00000000666C: D2890052 00010103
	s_lshr_b32 s61, s82, 24                                    // 000000006674: 8F3D9852
	s_and_b32 s82, s82, 0xffffff                               // 000000006678: 8652FF52 00FFFFFF
	s_mul_i32 s82, s82, s71                                    // 000000006680: 92524752
	s_mul_i32 s61, s60, s61                                    // 000000006684: 923D3D3C
	s_add_u32 s82, s82, s61                                    // 000000006688: 80523D52
	v_mul_lo_u32 v6, v5, s82                                   // 00000000668C: D2850006 0000A505
	v_readlane_b32 s82, v3, 1                                  // 000000006694: D2890052 00010303
	s_lshr_b32 s61, s82, 24                                    // 00000000669C: 8F3D9852
	s_and_b32 s82, s82, 0xffffff                               // 0000000066A0: 8652FF52 00FFFFFF
	s_mul_i32 s82, s82, s71                                    // 0000000066A8: 92524752
	s_mul_i32 s61, s60, s61                                    // 0000000066AC: 923D3D3C
	s_add_u32 s82, s82, s61                                    // 0000000066B0: 80523D52
	v_mul_lo_u32 v7, v4, s82                                   // 0000000066B4: D2850007 0000A504
	v_add_u32_e32 v40, v6, v7                                  // 0000000066BC: 68500F06
	v_readlane_b32 s82, v3, 2                                  // 0000000066C0: D2890052 00010503
	s_lshr_b32 s61, s82, 24                                    // 0000000066C8: 8F3D9852
	s_and_b32 s82, s82, 0xffffff                               // 0000000066CC: 8652FF52 00FFFFFF
	s_mul_i32 s82, s82, s71                                    // 0000000066D4: 92524752
	s_mul_i32 s61, s60, s61                                    // 0000000066D8: 923D3D3C
	s_add_u32 s82, s82, s61                                    // 0000000066DC: 80523D52
	v_mul_lo_u32 v6, v5, s82                                   // 0000000066E0: D2850006 0000A505
	v_readlane_b32 s82, v3, 3                                  // 0000000066E8: D2890052 00010703
	s_lshr_b32 s61, s82, 24                                    // 0000000066F0: 8F3D9852
	s_and_b32 s82, s82, 0xffffff                               // 0000000066F4: 8652FF52 00FFFFFF
	s_mul_i32 s82, s82, s71                                    // 0000000066FC: 92524752
	s_mul_i32 s61, s60, s61                                    // 000000006700: 923D3D3C
	s_add_u32 s82, s82, s61                                    // 000000006704: 80523D52
	v_mul_lo_u32 v7, v4, s82                                   // 000000006708: D2850007 0000A504
	v_add_u32_e32 v41, v6, v7                                  // 000000006710: 68520F06
	v_readlane_b32 s82, v3, 4                                  // 000000006714: D2890052 00010903
	s_lshr_b32 s61, s82, 24                                    // 00000000671C: 8F3D9852
	s_and_b32 s82, s82, 0xffffff                               // 000000006720: 8652FF52 00FFFFFF
	s_mul_i32 s82, s82, s71                                    // 000000006728: 92524752
	s_mul_i32 s61, s60, s61                                    // 00000000672C: 923D3D3C
	s_add_u32 s82, s82, s61                                    // 000000006730: 80523D52
	v_mul_lo_u32 v6, v5, s82                                   // 000000006734: D2850006 0000A505
	v_readlane_b32 s82, v3, 5                                  // 00000000673C: D2890052 00010B03
	s_lshr_b32 s61, s82, 24                                    // 000000006744: 8F3D9852
	s_and_b32 s82, s82, 0xffffff                               // 000000006748: 8652FF52 00FFFFFF
	s_mul_i32 s82, s82, s71                                    // 000000006750: 92524752
	s_mul_i32 s61, s60, s61                                    // 000000006754: 923D3D3C
	s_add_u32 s82, s82, s61                                    // 000000006758: 80523D52
	v_mul_lo_u32 v7, v4, s82                                   // 00000000675C: D2850007 0000A504
	v_add_u32_e32 v42, v6, v7                                  // 000000006764: 68540F06
	v_readlane_b32 s82, v3, 6                                  // 000000006768: D2890052 00010D03
	s_lshr_b32 s61, s82, 24                                    // 000000006770: 8F3D9852
	s_and_b32 s82, s82, 0xffffff                               // 000000006774: 8652FF52 00FFFFFF
	s_mul_i32 s82, s82, s71                                    // 00000000677C: 92524752
	s_mul_i32 s61, s60, s61                                    // 000000006780: 923D3D3C
	s_add_u32 s82, s82, s61                                    // 000000006784: 80523D52
	v_mul_lo_u32 v6, v5, s82                                   // 000000006788: D2850006 0000A505
	v_readlane_b32 s82, v3, 7                                  // 000000006790: D2890052 00010F03
	s_lshr_b32 s61, s82, 24                                    // 000000006798: 8F3D9852
	s_and_b32 s82, s82, 0xffffff                               // 00000000679C: 8652FF52 00FFFFFF
	s_mul_i32 s82, s82, s71                                    // 0000000067A4: 92524752
	s_mul_i32 s61, s60, s61                                    // 0000000067A8: 923D3D3C
	s_add_u32 s82, s82, s61                                    // 0000000067AC: 80523D52
	v_mul_lo_u32 v7, v4, s82                                   // 0000000067B0: D2850007 0000A504
	v_add_u32_e32 v43, v6, v7                                  // 0000000067B8: 68560F06
	v_readlane_b32 s82, v3, 8                                  // 0000000067BC: D2890052 00011103
	s_lshr_b32 s61, s82, 24                                    // 0000000067C4: 8F3D9852
	s_and_b32 s82, s82, 0xffffff                               // 0000000067C8: 8652FF52 00FFFFFF
	s_mul_i32 s82, s82, s71                                    // 0000000067D0: 92524752
	s_mul_i32 s61, s60, s61                                    // 0000000067D4: 923D3D3C
	s_add_u32 s82, s82, s61                                    // 0000000067D8: 80523D52
	v_mul_lo_u32 v6, v5, s82                                   // 0000000067DC: D2850006 0000A505
	v_readlane_b32 s82, v3, 9                                  // 0000000067E4: D2890052 00011303
	s_lshr_b32 s61, s82, 24                                    // 0000000067EC: 8F3D9852
	s_and_b32 s82, s82, 0xffffff                               // 0000000067F0: 8652FF52 00FFFFFF
	s_mul_i32 s82, s82, s71                                    // 0000000067F8: 92524752
	s_mul_i32 s61, s60, s61                                    // 0000000067FC: 923D3D3C
	s_add_u32 s82, s82, s61                                    // 000000006800: 80523D52
	v_mul_lo_u32 v7, v4, s82                                   // 000000006804: D2850007 0000A504
	v_add_u32_e32 v44, v6, v7                                  // 00000000680C: 68580F06
	v_readlane_b32 s82, v3, 10                                 // 000000006810: D2890052 00011503
	s_lshr_b32 s61, s82, 24                                    // 000000006818: 8F3D9852
	s_and_b32 s82, s82, 0xffffff                               // 00000000681C: 8652FF52 00FFFFFF
	s_mul_i32 s82, s82, s71                                    // 000000006824: 92524752
	s_mul_i32 s61, s60, s61                                    // 000000006828: 923D3D3C
	s_add_u32 s82, s82, s61                                    // 00000000682C: 80523D52
	v_mul_lo_u32 v6, v5, s82                                   // 000000006830: D2850006 0000A505
	v_readlane_b32 s82, v3, 11                                 // 000000006838: D2890052 00011703
	s_lshr_b32 s61, s82, 24                                    // 000000006840: 8F3D9852
	s_and_b32 s82, s82, 0xffffff                               // 000000006844: 8652FF52 00FFFFFF
	s_mul_i32 s82, s82, s71                                    // 00000000684C: 92524752
	s_mul_i32 s61, s60, s61                                    // 000000006850: 923D3D3C
	s_add_u32 s82, s82, s61                                    // 000000006854: 80523D52
	v_mul_lo_u32 v7, v4, s82                                   // 000000006858: D2850007 0000A504
	v_add_u32_e32 v45, v6, v7                                  // 000000006860: 685A0F06
	v_and_b32_e32 v4, 31, v0                                   // 000000006864: 2608009F
	v_lshrrev_b32_e32 v4, 1, v4                                // 000000006868: 20080881
	s_cmp_eq_u32 s88, 0                                        // 00000000686C: BF068058
	s_cselect_b32 s61, 2, 4                                    // 000000006870: 853D8482
	v_mul_lo_u32 v4, v4, s61                                   // 000000006874: D2850004 00007B04
	v_and_b32_e64 v5, v0, 1                                    // 00000000687C: D1130005 00010300
	v_add_u32_e32 v4, v4, v5                                   // 000000006884: 68080B04
	v_lshlrev_b32_e32 v4, 2, v4                                // 000000006888: 24080882
	v_add_u32_e32 v40, v40, v4                                 // 00000000688C: 68500928
	v_add_u32_e32 v41, v41, v4                                 // 000000006890: 68520929
	v_add_u32_e32 v42, v42, v4                                 // 000000006894: 6854092A
	v_add_u32_e32 v43, v43, v4                                 // 000000006898: 6856092B
	v_add_u32_e32 v44, v44, v4                                 // 00000000689C: 6858092C
	v_add_u32_e32 v45, v45, v4                                 // 0000000068A0: 685A092D
	s_waitcnt lgkmcnt(0)                                       // 0000000068A4: BF8CC07F
	s_barrier                                                  // 0000000068A8: BF8A0000
	ds_read_b32 v48, v21                                       // 0000000068AC: D86C0000 30000015
	ds_read_b32 v49, v21 offset:64                             // 0000000068B4: D86C0040 31000015
	ds_read_b32 v50, v21 offset:2176                           // 0000000068BC: D86C0880 32000015
	ds_read_b32 v51, v21 offset:2240                           // 0000000068C4: D86C08C0 33000015
	ds_read_b32 v52, v21 offset:4352                           // 0000000068CC: D86C1100 34000015
	ds_read_b32 v53, v21 offset:4416                           // 0000000068D4: D86C1140 35000015
	ds_read_b32 v54, v21 offset:6528                           // 0000000068DC: D86C1980 36000015
	ds_read_b32 v55, v21 offset:6592                           // 0000000068E4: D86C19C0 37000015
	ds_read_b32 v56, v21 offset:8704                           // 0000000068EC: D86C2200 38000015
	ds_read_b32 v57, v21 offset:8768                           // 0000000068F4: D86C2240 39000015
	ds_read_b32 v58, v21 offset:10880                          // 0000000068FC: D86C2A80 3A000015
	ds_read_b32 v59, v21 offset:10944                          // 000000006904: D86C2AC0 3B000015
	s_waitcnt lgkmcnt(0)                                       // 00000000690C: BF8CC07F
	s_mov_b32 s36, -1                                          // 000000006910: BEA400C1
	s_mov_b32 s37, -1                                          // 000000006914: BEA500C1
	v_mov_b32_e32 v7, 0                                        // 000000006918: 7E0E0280
	s_or_b32 s9, s9, 0x40000                                   // 00000000691C: 8709FF09 00040000
	s_mov_b64 exec, s[36:37]                                   // 000000006924: BEFE0124
	v_mov_b32_e32 v6, v40                                      // 000000006928: 7E0C0328
	s_mov_b64 s[60:61], 0                                      // 00000000692C: BEBC0180
	v_readlane_b32 s82, v3, 0                                  // 000000006930: D2890052 00010103
	s_and_b32 s82, s82, 0xffffff                               // 000000006938: 8652FF52 00FFFFFF
	s_cmp_lt_u32 s82, s66                                      // 000000006940: BF0A4252
	s_cselect_b32 s20, s36, s60                                // 000000006944: 85143C24
	v_readlane_b32 s82, v3, 1                                  // 000000006948: D2890052 00010303
	s_and_b32 s82, s82, 0xffffff                               // 000000006950: 8652FF52 00FFFFFF
	s_cmp_lt_u32 s82, s66                                      // 000000006958: BF0A4252
	s_cselect_b32 s21, s36, s60                                // 00000000695C: 85153C24
	s_mov_b64 exec, s[20:21]                                   // 000000006960: BEFE0114
	buffer_store_dword v48, v6, s[8:11], 0 offen               // 000000006964: E0701000 80023006
	buffer_store_dword v50, v6, s[8:11], 0 offen offset:128    // 00000000696C: E0701080 80023206
	s_mov_b64 exec, s[36:37]                                   // 000000006974: BEFE0124
	v_mov_b32_e32 v6, v41                                      // 000000006978: 7E0C0329
	s_mov_b64 s[60:61], 0                                      // 00000000697C: BEBC0180
	v_readlane_b32 s82, v3, 2                                  // 000000006980: D2890052 00010503
	s_and_b32 s82, s82, 0xffffff                               // 000000006988: 8652FF52 00FFFFFF
	s_cmp_lt_u32 s82, s66                                      // 000000006990: BF0A4252
	s_cselect_b32 s20, s36, s60                                // 000000006994: 85143C24
	v_readlane_b32 s82, v3, 3                                  // 000000006998: D2890052 00010703
	s_and_b32 s82, s82, 0xffffff                               // 0000000069A0: 8652FF52 00FFFFFF
	s_cmp_lt_u32 s82, s66                                      // 0000000069A8: BF0A4252
	s_cselect_b32 s21, s36, s60                                // 0000000069AC: 85153C24
	s_mov_b64 exec, s[20:21]                                   // 0000000069B0: BEFE0114
	buffer_store_dword v49, v6, s[8:11], 0 offen               // 0000000069B4: E0701000 80023106
	buffer_store_dword v51, v6, s[8:11], 0 offen offset:128    // 0000000069BC: E0701080 80023306
	s_mov_b64 exec, s[36:37]                                   // 0000000069C4: BEFE0124
	v_mov_b32_e32 v6, v42                                      // 0000000069C8: 7E0C032A
	s_mov_b64 s[60:61], 0                                      // 0000000069CC: BEBC0180
	v_readlane_b32 s82, v3, 4                                  // 0000000069D0: D2890052 00010903
	s_and_b32 s82, s82, 0xffffff                               // 0000000069D8: 8652FF52 00FFFFFF
	s_cmp_lt_u32 s82, s66                                      // 0000000069E0: BF0A4252
	s_cselect_b32 s20, s36, s60                                // 0000000069E4: 85143C24
	v_readlane_b32 s82, v3, 5                                  // 0000000069E8: D2890052 00010B03
	s_and_b32 s82, s82, 0xffffff                               // 0000000069F0: 8652FF52 00FFFFFF
	s_cmp_lt_u32 s82, s66                                      // 0000000069F8: BF0A4252
	s_cselect_b32 s21, s36, s60                                // 0000000069FC: 85153C24
	s_mov_b64 exec, s[20:21]                                   // 000000006A00: BEFE0114
	buffer_store_dword v52, v6, s[8:11], 0 offen               // 000000006A04: E0701000 80023406
	buffer_store_dword v54, v6, s[8:11], 0 offen offset:128    // 000000006A0C: E0701080 80023606
	s_mov_b64 exec, s[36:37]                                   // 000000006A14: BEFE0124
	v_mov_b32_e32 v6, v43                                      // 000000006A18: 7E0C032B
	s_mov_b64 s[60:61], 0                                      // 000000006A1C: BEBC0180
	v_readlane_b32 s82, v3, 6                                  // 000000006A20: D2890052 00010D03
	s_and_b32 s82, s82, 0xffffff                               // 000000006A28: 8652FF52 00FFFFFF
	s_cmp_lt_u32 s82, s66                                      // 000000006A30: BF0A4252
	s_cselect_b32 s20, s36, s60                                // 000000006A34: 85143C24
	v_readlane_b32 s82, v3, 7                                  // 000000006A38: D2890052 00010F03
	s_and_b32 s82, s82, 0xffffff                               // 000000006A40: 8652FF52 00FFFFFF
	s_cmp_lt_u32 s82, s66                                      // 000000006A48: BF0A4252
	s_cselect_b32 s21, s36, s60                                // 000000006A4C: 85153C24
	s_mov_b64 exec, s[20:21]                                   // 000000006A50: BEFE0114
	buffer_store_dword v53, v6, s[8:11], 0 offen               // 000000006A54: E0701000 80023506
	buffer_store_dword v55, v6, s[8:11], 0 offen offset:128    // 000000006A5C: E0701080 80023706
	s_mov_b64 exec, s[36:37]                                   // 000000006A64: BEFE0124
	v_mov_b32_e32 v6, v44                                      // 000000006A68: 7E0C032C
	s_mov_b64 s[60:61], 0                                      // 000000006A6C: BEBC0180
	v_readlane_b32 s82, v3, 8                                  // 000000006A70: D2890052 00011103
	s_and_b32 s82, s82, 0xffffff                               // 000000006A78: 8652FF52 00FFFFFF
	s_cmp_lt_u32 s82, s66                                      // 000000006A80: BF0A4252
	s_cselect_b32 s20, s36, s60                                // 000000006A84: 85143C24
	v_readlane_b32 s82, v3, 9                                  // 000000006A88: D2890052 00011303
	s_and_b32 s82, s82, 0xffffff                               // 000000006A90: 8652FF52 00FFFFFF
	s_cmp_lt_u32 s82, s66                                      // 000000006A98: BF0A4252
	s_cselect_b32 s21, s36, s60                                // 000000006A9C: 85153C24
	s_mov_b64 exec, s[20:21]                                   // 000000006AA0: BEFE0114
	buffer_store_dword v56, v6, s[8:11], 0 offen               // 000000006AA4: E0701000 80023806
	buffer_store_dword v58, v6, s[8:11], 0 offen offset:128    // 000000006AAC: E0701080 80023A06
	s_mov_b64 exec, s[36:37]                                   // 000000006AB4: BEFE0124
	v_mov_b32_e32 v6, v45                                      // 000000006AB8: 7E0C032D
	s_mov_b64 s[60:61], 0                                      // 000000006ABC: BEBC0180
	v_readlane_b32 s82, v3, 10                                 // 000000006AC0: D2890052 00011503
	s_and_b32 s82, s82, 0xffffff                               // 000000006AC8: 8652FF52 00FFFFFF
	s_cmp_lt_u32 s82, s66                                      // 000000006AD0: BF0A4252
	s_cselect_b32 s20, s36, s60                                // 000000006AD4: 85143C24
	v_readlane_b32 s82, v3, 11                                 // 000000006AD8: D2890052 00011703
	s_and_b32 s82, s82, 0xffffff                               // 000000006AE0: 8652FF52 00FFFFFF
	s_cmp_lt_u32 s82, s66                                      // 000000006AE8: BF0A4252
	s_cselect_b32 s21, s36, s60                                // 000000006AEC: 85153C24
	s_mov_b64 exec, s[20:21]                                   // 000000006AF0: BEFE0114
	buffer_store_dword v57, v6, s[8:11], 0 offen               // 000000006AF4: E0701000 80023906
	buffer_store_dword v59, v6, s[8:11], 0 offen offset:128    // 000000006AFC: E0701080 80023B06
	s_mov_b64 exec, s[36:37]                                   // 000000006B04: BEFE0124
	s_branch label_1364                                        // 000000006B08: BF82031E

0000000000006b0c <label_1046>:
	ds_write_b64 v20, v[48:49]                                 // 000000006B0C: D89A0000 00003014
	ds_write_b64 v20, v[52:53] offset:4352                     // 000000006B14: D89A1100 00003414
	ds_write_b64 v20, v[56:57] offset:8704                     // 000000006B1C: D89A2200 00003814
	ds_write_b64 v20, v[60:61] offset:2176                     // 000000006B24: D89A0880 00003C14
	ds_write_b64 v20, v[64:65] offset:6528                     // 000000006B2C: D89A1980 00004014
	ds_write_b64 v20, v[68:69] offset:10880                    // 000000006B34: D89A2A80 00004414
	v_lshrrev_b32_e32 v4, 5, v0                                // 000000006B3C: 20080085
	v_xor_b32_e32 v5, 1, v4                                    // 000000006B40: 2A0A0881
	s_mul_i32 s60, s65, 2                                      // 000000006B44: 923C8241
	s_cmp_eq_u32 s88, 0                                        // 000000006B48: BF068058
	s_cselect_b32 s61, 1, 4                                    // 000000006B4C: 853D8481
	s_mul_i32 s60, s61, s60                                    // 000000006B50: 923C3C3D
	v_readlane_b32 s82, v3, 0                                  // 000000006B54: D2890052 00010103
	s_lshr_b32 s61, s82, 24                                    // 000000006B5C: 8F3D9852
	s_and_b32 s82, s82, 0xffffff                               // 000000006B60: 8652FF52 00FFFFFF
	s_mul_i32 s82, s82, s71                                    // 000000006B68: 92524752
	s_mul_i32 s61, s60, s61                                    // 000000006B6C: 923D3D3C
	s_add_u32 s82, s82, s61                                    // 000000006B70: 80523D52
	v_mul_lo_u32 v6, v5, s82                                   // 000000006B74: D2850006 0000A505
	v_readlane_b32 s82, v3, 1                                  // 000000006B7C: D2890052 00010303
	s_lshr_b32 s61, s82, 24                                    // 000000006B84: 8F3D9852
	s_and_b32 s82, s82, 0xffffff                               // 000000006B88: 8652FF52 00FFFFFF
	s_mul_i32 s82, s82, s71                                    // 000000006B90: 92524752
	s_mul_i32 s61, s60, s61                                    // 000000006B94: 923D3D3C
	s_add_u32 s82, s82, s61                                    // 000000006B98: 80523D52
	v_mul_lo_u32 v7, v4, s82                                   // 000000006B9C: D2850007 0000A504
	v_add_u32_e32 v40, v6, v7                                  // 000000006BA4: 68500F06
	v_readlane_b32 s82, v3, 2                                  // 000000006BA8: D2890052 00010503
	s_lshr_b32 s61, s82, 24                                    // 000000006BB0: 8F3D9852
	s_and_b32 s82, s82, 0xffffff                               // 000000006BB4: 8652FF52 00FFFFFF
	s_mul_i32 s82, s82, s71                                    // 000000006BBC: 92524752
	s_mul_i32 s61, s60, s61                                    // 000000006BC0: 923D3D3C
	s_add_u32 s82, s82, s61                                    // 000000006BC4: 80523D52
	v_mul_lo_u32 v6, v5, s82                                   // 000000006BC8: D2850006 0000A505
	v_readlane_b32 s82, v3, 3                                  // 000000006BD0: D2890052 00010703
	s_lshr_b32 s61, s82, 24                                    // 000000006BD8: 8F3D9852
	s_and_b32 s82, s82, 0xffffff                               // 000000006BDC: 8652FF52 00FFFFFF
	s_mul_i32 s82, s82, s71                                    // 000000006BE4: 92524752
	s_mul_i32 s61, s60, s61                                    // 000000006BE8: 923D3D3C
	s_add_u32 s82, s82, s61                                    // 000000006BEC: 80523D52
	v_mul_lo_u32 v7, v4, s82                                   // 000000006BF0: D2850007 0000A504
	v_add_u32_e32 v41, v6, v7                                  // 000000006BF8: 68520F06
	v_readlane_b32 s82, v3, 4                                  // 000000006BFC: D2890052 00010903
	s_lshr_b32 s61, s82, 24                                    // 000000006C04: 8F3D9852
	s_and_b32 s82, s82, 0xffffff                               // 000000006C08: 8652FF52 00FFFFFF
	s_mul_i32 s82, s82, s71                                    // 000000006C10: 92524752
	s_mul_i32 s61, s60, s61                                    // 000000006C14: 923D3D3C
	s_add_u32 s82, s82, s61                                    // 000000006C18: 80523D52
	v_mul_lo_u32 v6, v5, s82                                   // 000000006C1C: D2850006 0000A505
	v_readlane_b32 s82, v3, 5                                  // 000000006C24: D2890052 00010B03
	s_lshr_b32 s61, s82, 24                                    // 000000006C2C: 8F3D9852
	s_and_b32 s82, s82, 0xffffff                               // 000000006C30: 8652FF52 00FFFFFF
	s_mul_i32 s82, s82, s71                                    // 000000006C38: 92524752
	s_mul_i32 s61, s60, s61                                    // 000000006C3C: 923D3D3C
	s_add_u32 s82, s82, s61                                    // 000000006C40: 80523D52
	v_mul_lo_u32 v7, v4, s82                                   // 000000006C44: D2850007 0000A504
	v_add_u32_e32 v42, v6, v7                                  // 000000006C4C: 68540F06
	v_readlane_b32 s82, v3, 6                                  // 000000006C50: D2890052 00010D03
	s_lshr_b32 s61, s82, 24                                    // 000000006C58: 8F3D9852
	s_and_b32 s82, s82, 0xffffff                               // 000000006C5C: 8652FF52 00FFFFFF
	s_mul_i32 s82, s82, s71                                    // 000000006C64: 92524752
	s_mul_i32 s61, s60, s61                                    // 000000006C68: 923D3D3C
	s_add_u32 s82, s82, s61                                    // 000000006C6C: 80523D52
	v_mul_lo_u32 v6, v5, s82                                   // 000000006C70: D2850006 0000A505
	v_readlane_b32 s82, v3, 7                                  // 000000006C78: D2890052 00010F03
	s_lshr_b32 s61, s82, 24                                    // 000000006C80: 8F3D9852
	s_and_b32 s82, s82, 0xffffff                               // 000000006C84: 8652FF52 00FFFFFF
	s_mul_i32 s82, s82, s71                                    // 000000006C8C: 92524752
	s_mul_i32 s61, s60, s61                                    // 000000006C90: 923D3D3C
	s_add_u32 s82, s82, s61                                    // 000000006C94: 80523D52
	v_mul_lo_u32 v7, v4, s82                                   // 000000006C98: D2850007 0000A504
	v_add_u32_e32 v43, v6, v7                                  // 000000006CA0: 68560F06
	v_readlane_b32 s82, v3, 8                                  // 000000006CA4: D2890052 00011103
	s_lshr_b32 s61, s82, 24                                    // 000000006CAC: 8F3D9852
	s_and_b32 s82, s82, 0xffffff                               // 000000006CB0: 8652FF52 00FFFFFF
	s_mul_i32 s82, s82, s71                                    // 000000006CB8: 92524752
	s_mul_i32 s61, s60, s61                                    // 000000006CBC: 923D3D3C
	s_add_u32 s82, s82, s61                                    // 000000006CC0: 80523D52
	v_mul_lo_u32 v6, v5, s82                                   // 000000006CC4: D2850006 0000A505
	v_readlane_b32 s82, v3, 9                                  // 000000006CCC: D2890052 00011303
	s_lshr_b32 s61, s82, 24                                    // 000000006CD4: 8F3D9852
	s_and_b32 s82, s82, 0xffffff                               // 000000006CD8: 8652FF52 00FFFFFF
	s_mul_i32 s82, s82, s71                                    // 000000006CE0: 92524752
	s_mul_i32 s61, s60, s61                                    // 000000006CE4: 923D3D3C
	s_add_u32 s82, s82, s61                                    // 000000006CE8: 80523D52
	v_mul_lo_u32 v7, v4, s82                                   // 000000006CEC: D2850007 0000A504
	v_add_u32_e32 v44, v6, v7                                  // 000000006CF4: 68580F06
	v_readlane_b32 s82, v3, 10                                 // 000000006CF8: D2890052 00011503
	s_lshr_b32 s61, s82, 24                                    // 000000006D00: 8F3D9852
	s_and_b32 s82, s82, 0xffffff                               // 000000006D04: 8652FF52 00FFFFFF
	s_mul_i32 s82, s82, s71                                    // 000000006D0C: 92524752
	s_mul_i32 s61, s60, s61                                    // 000000006D10: 923D3D3C
	s_add_u32 s82, s82, s61                                    // 000000006D14: 80523D52
	v_mul_lo_u32 v6, v5, s82                                   // 000000006D18: D2850006 0000A505
	v_readlane_b32 s82, v3, 11                                 // 000000006D20: D2890052 00011703
	s_lshr_b32 s61, s82, 24                                    // 000000006D28: 8F3D9852
	s_and_b32 s82, s82, 0xffffff                               // 000000006D2C: 8652FF52 00FFFFFF
	s_mul_i32 s82, s82, s71                                    // 000000006D34: 92524752
	s_mul_i32 s61, s60, s61                                    // 000000006D38: 923D3D3C
	s_add_u32 s82, s82, s61                                    // 000000006D3C: 80523D52
	v_mul_lo_u32 v7, v4, s82                                   // 000000006D40: D2850007 0000A504
	v_add_u32_e32 v45, v6, v7                                  // 000000006D48: 685A0F06
	v_and_b32_e32 v4, 31, v0                                   // 000000006D4C: 2608009F
	v_lshrrev_b32_e32 v4, 1, v4                                // 000000006D50: 20080881
	s_cmp_eq_u32 s88, 0                                        // 000000006D54: BF068058
	s_cselect_b32 s61, 2, 4                                    // 000000006D58: 853D8482
	v_mul_lo_u32 v4, v4, s61                                   // 000000006D5C: D2850004 00007B04
	v_and_b32_e64 v5, v0, 1                                    // 000000006D64: D1130005 00010300
	v_add_u32_e32 v4, v4, v5                                   // 000000006D6C: 68080B04
	v_lshlrev_b32_e32 v4, 2, v4                                // 000000006D70: 24080882
	v_add_u32_e32 v40, v40, v4                                 // 000000006D74: 68500928
	v_add_u32_e32 v41, v41, v4                                 // 000000006D78: 68520929
	v_add_u32_e32 v42, v42, v4                                 // 000000006D7C: 6854092A
	v_add_u32_e32 v43, v43, v4                                 // 000000006D80: 6856092B
	v_add_u32_e32 v44, v44, v4                                 // 000000006D84: 6858092C
	v_add_u32_e32 v45, v45, v4                                 // 000000006D88: 685A092D
	s_waitcnt lgkmcnt(0)                                       // 000000006D8C: BF8CC07F
	s_barrier                                                  // 000000006D90: BF8A0000
	ds_read_b32 v48, v21                                       // 000000006D94: D86C0000 30000015
	ds_read_b32 v49, v21 offset:64                             // 000000006D9C: D86C0040 31000015
	ds_read_b32 v52, v21 offset:2176                           // 000000006DA4: D86C0880 34000015
	ds_read_b32 v53, v21 offset:2240                           // 000000006DAC: D86C08C0 35000015
	ds_read_b32 v56, v21 offset:4352                           // 000000006DB4: D86C1100 38000015
	ds_read_b32 v57, v21 offset:4416                           // 000000006DBC: D86C1140 39000015
	ds_read_b32 v60, v21 offset:6528                           // 000000006DC4: D86C1980 3C000015
	ds_read_b32 v61, v21 offset:6592                           // 000000006DCC: D86C19C0 3D000015
	ds_read_b32 v64, v21 offset:8704                           // 000000006DD4: D86C2200 40000015
	ds_read_b32 v65, v21 offset:8768                           // 000000006DDC: D86C2240 41000015
	ds_read_b32 v68, v21 offset:10880                          // 000000006DE4: D86C2A80 44000015
	ds_read_b32 v69, v21 offset:10944                          // 000000006DEC: D86C2AC0 45000015
	s_waitcnt lgkmcnt(0)                                       // 000000006DF4: BF8CC07F
	s_mov_b32 s36, -1                                          // 000000006DF8: BEA400C1
	s_mov_b32 s37, -1                                          // 000000006DFC: BEA500C1
	v_mov_b32_e32 v7, 0                                        // 000000006E00: 7E0E0280
	s_mov_b64 exec, s[36:37]                                   // 000000006E04: BEFE0124
	v_mov_b32_e32 v6, v40                                      // 000000006E08: 7E0C0328
	s_mov_b64 s[60:61], 0                                      // 000000006E0C: BEBC0180
	v_readlane_b32 s82, v3, 0                                  // 000000006E10: D2890052 00010103
	s_and_b32 s82, s82, 0xffffff                               // 000000006E18: 8652FF52 00FFFFFF
	s_cmp_lt_u32 s82, s66                                      // 000000006E20: BF0A4252
	s_cselect_b32 s20, s36, s60                                // 000000006E24: 85143C24
	v_readlane_b32 s82, v3, 1                                  // 000000006E28: D2890052 00010303
	s_and_b32 s82, s82, 0xffffff                               // 000000006E30: 8652FF52 00FFFFFF
	s_cmp_lt_u32 s82, s66                                      // 000000006E38: BF0A4252
	s_cselect_b32 s21, s36, s60                                // 000000006E3C: 85153C24
	s_mov_b64 exec, s[20:21]                                   // 000000006E40: BEFE0114
	global_atomic_add_f32 v6, v48, s[8:9]                      // 000000006E44: DD348000 00083006
	global_atomic_add_f32 v6, v52, s[8:9] offset:256           // 000000006E4C: DD348100 00083406
	s_mov_b64 exec, s[36:37]                                   // 000000006E54: BEFE0124
	v_mov_b32_e32 v6, v41                                      // 000000006E58: 7E0C0329
	s_mov_b64 s[60:61], 0                                      // 000000006E5C: BEBC0180
	v_readlane_b32 s82, v3, 2                                  // 000000006E60: D2890052 00010503
	s_and_b32 s82, s82, 0xffffff                               // 000000006E68: 8652FF52 00FFFFFF
	s_cmp_lt_u32 s82, s66                                      // 000000006E70: BF0A4252
	s_cselect_b32 s20, s36, s60                                // 000000006E74: 85143C24
	v_readlane_b32 s82, v3, 3                                  // 000000006E78: D2890052 00010703
	s_and_b32 s82, s82, 0xffffff                               // 000000006E80: 8652FF52 00FFFFFF
	s_cmp_lt_u32 s82, s66                                      // 000000006E88: BF0A4252
	s_cselect_b32 s21, s36, s60                                // 000000006E8C: 85153C24
	s_mov_b64 exec, s[20:21]                                   // 000000006E90: BEFE0114
	global_atomic_add_f32 v6, v49, s[8:9]                      // 000000006E94: DD348000 00083106
	global_atomic_add_f32 v6, v53, s[8:9] offset:256           // 000000006E9C: DD348100 00083506
	s_mov_b64 exec, s[36:37]                                   // 000000006EA4: BEFE0124
	v_mov_b32_e32 v6, v42                                      // 000000006EA8: 7E0C032A
	s_mov_b64 s[60:61], 0                                      // 000000006EAC: BEBC0180
	v_readlane_b32 s82, v3, 4                                  // 000000006EB0: D2890052 00010903
	s_and_b32 s82, s82, 0xffffff                               // 000000006EB8: 8652FF52 00FFFFFF
	s_cmp_lt_u32 s82, s66                                      // 000000006EC0: BF0A4252
	s_cselect_b32 s20, s36, s60                                // 000000006EC4: 85143C24
	v_readlane_b32 s82, v3, 5                                  // 000000006EC8: D2890052 00010B03
	s_and_b32 s82, s82, 0xffffff                               // 000000006ED0: 8652FF52 00FFFFFF
	s_cmp_lt_u32 s82, s66                                      // 000000006ED8: BF0A4252
	s_cselect_b32 s21, s36, s60                                // 000000006EDC: 85153C24
	s_mov_b64 exec, s[20:21]                                   // 000000006EE0: BEFE0114
	global_atomic_add_f32 v6, v56, s[8:9]                      // 000000006EE4: DD348000 00083806
	global_atomic_add_f32 v6, v60, s[8:9] offset:256           // 000000006EEC: DD348100 00083C06
	s_mov_b64 exec, s[36:37]                                   // 000000006EF4: BEFE0124
	v_mov_b32_e32 v6, v43                                      // 000000006EF8: 7E0C032B
	s_mov_b64 s[60:61], 0                                      // 000000006EFC: BEBC0180
	v_readlane_b32 s82, v3, 6                                  // 000000006F00: D2890052 00010D03
	s_and_b32 s82, s82, 0xffffff                               // 000000006F08: 8652FF52 00FFFFFF
	s_cmp_lt_u32 s82, s66                                      // 000000006F10: BF0A4252
	s_cselect_b32 s20, s36, s60                                // 000000006F14: 85143C24
	v_readlane_b32 s82, v3, 7                                  // 000000006F18: D2890052 00010F03
	s_and_b32 s82, s82, 0xffffff                               // 000000006F20: 8652FF52 00FFFFFF
	s_cmp_lt_u32 s82, s66                                      // 000000006F28: BF0A4252
	s_cselect_b32 s21, s36, s60                                // 000000006F2C: 85153C24
	s_mov_b64 exec, s[20:21]                                   // 000000006F30: BEFE0114
	global_atomic_add_f32 v6, v57, s[8:9]                      // 000000006F34: DD348000 00083906
	global_atomic_add_f32 v6, v61, s[8:9] offset:256           // 000000006F3C: DD348100 00083D06
	s_mov_b64 exec, s[36:37]                                   // 000000006F44: BEFE0124
	v_mov_b32_e32 v6, v44                                      // 000000006F48: 7E0C032C
	s_mov_b64 s[60:61], 0                                      // 000000006F4C: BEBC0180
	v_readlane_b32 s82, v3, 8                                  // 000000006F50: D2890052 00011103
	s_and_b32 s82, s82, 0xffffff                               // 000000006F58: 8652FF52 00FFFFFF
	s_cmp_lt_u32 s82, s66                                      // 000000006F60: BF0A4252
	s_cselect_b32 s20, s36, s60                                // 000000006F64: 85143C24
	v_readlane_b32 s82, v3, 9                                  // 000000006F68: D2890052 00011303
	s_and_b32 s82, s82, 0xffffff                               // 000000006F70: 8652FF52 00FFFFFF
	s_cmp_lt_u32 s82, s66                                      // 000000006F78: BF0A4252
	s_cselect_b32 s21, s36, s60                                // 000000006F7C: 85153C24
	s_mov_b64 exec, s[20:21]                                   // 000000006F80: BEFE0114
	global_atomic_add_f32 v6, v64, s[8:9]                      // 000000006F84: DD348000 00084006
	global_atomic_add_f32 v6, v68, s[8:9] offset:256           // 000000006F8C: DD348100 00084406
	s_mov_b64 exec, s[36:37]                                   // 000000006F94: BEFE0124
	v_mov_b32_e32 v6, v45                                      // 000000006F98: 7E0C032D
	s_mov_b64 s[60:61], 0                                      // 000000006F9C: BEBC0180
	v_readlane_b32 s82, v3, 10                                 // 000000006FA0: D2890052 00011503
	s_and_b32 s82, s82, 0xffffff                               // 000000006FA8: 8652FF52 00FFFFFF
	s_cmp_lt_u32 s82, s66                                      // 000000006FB0: BF0A4252
	s_cselect_b32 s20, s36, s60                                // 000000006FB4: 85143C24
	v_readlane_b32 s82, v3, 11                                 // 000000006FB8: D2890052 00011703
	s_and_b32 s82, s82, 0xffffff                               // 000000006FC0: 8652FF52 00FFFFFF
	s_cmp_lt_u32 s82, s66                                      // 000000006FC8: BF0A4252
	s_cselect_b32 s21, s36, s60                                // 000000006FCC: 85153C24
	s_mov_b64 exec, s[20:21]                                   // 000000006FD0: BEFE0114
	global_atomic_add_f32 v6, v65, s[8:9]                      // 000000006FD4: DD348000 00084106
	global_atomic_add_f32 v6, v69, s[8:9] offset:256           // 000000006FDC: DD348100 00084506
	s_mov_b64 exec, s[36:37]                                   // 000000006FE4: BEFE0124
	ds_write_b64 v20, v[50:51]                                 // 000000006FE8: D89A0000 00003214
	ds_write_b64 v20, v[54:55] offset:4352                     // 000000006FF0: D89A1100 00003614
	ds_write_b64 v20, v[58:59] offset:8704                     // 000000006FF8: D89A2200 00003A14
	ds_write_b64 v20, v[62:63] offset:2176                     // 000000007000: D89A0880 00003E14
	ds_write_b64 v20, v[66:67] offset:6528                     // 000000007008: D89A1980 00004214
	ds_write_b64 v20, v[70:71] offset:10880                    // 000000007010: D89A2A80 00004614
	s_waitcnt lgkmcnt(0)                                       // 000000007018: BF8CC07F
	s_barrier                                                  // 00000000701C: BF8A0000
	ds_read_b32 v50, v21                                       // 000000007020: D86C0000 32000015
	ds_read_b32 v51, v21 offset:64                             // 000000007028: D86C0040 33000015
	ds_read_b32 v54, v21 offset:2176                           // 000000007030: D86C0880 36000015
	ds_read_b32 v55, v21 offset:2240                           // 000000007038: D86C08C0 37000015
	ds_read_b32 v58, v21 offset:4352                           // 000000007040: D86C1100 3A000015
	ds_read_b32 v59, v21 offset:4416                           // 000000007048: D86C1140 3B000015
	ds_read_b32 v62, v21 offset:6528                           // 000000007050: D86C1980 3E000015
	ds_read_b32 v63, v21 offset:6592                           // 000000007058: D86C19C0 3F000015
	ds_read_b32 v66, v21 offset:8704                           // 000000007060: D86C2200 42000015
	ds_read_b32 v67, v21 offset:8768                           // 000000007068: D86C2240 43000015
	ds_read_b32 v70, v21 offset:10880                          // 000000007070: D86C2A80 46000015
	ds_read_b32 v71, v21 offset:10944                          // 000000007078: D86C2AC0 47000015
	s_waitcnt lgkmcnt(0)                                       // 000000007080: BF8CC07F
	v_mov_b32_e32 v7, 0                                        // 000000007084: 7E0E0280
	s_mov_b64 exec, s[36:37]                                   // 000000007088: BEFE0124
	v_mov_b32_e32 v6, v40                                      // 00000000708C: 7E0C0328
	s_mov_b64 s[60:61], 0                                      // 000000007090: BEBC0180
	v_readlane_b32 s82, v3, 0                                  // 000000007094: D2890052 00010103
	s_and_b32 s82, s82, 0xffffff                               // 00000000709C: 8652FF52 00FFFFFF
	s_cmp_lt_u32 s82, s66                                      // 0000000070A4: BF0A4252
	s_cselect_b32 s20, s36, s60                                // 0000000070A8: 85143C24
	v_readlane_b32 s82, v3, 1                                  // 0000000070AC: D2890052 00010303
	s_and_b32 s82, s82, 0xffffff                               // 0000000070B4: 8652FF52 00FFFFFF
	s_cmp_lt_u32 s82, s66                                      // 0000000070BC: BF0A4252
	s_cselect_b32 s21, s36, s60                                // 0000000070C0: 85153C24
	s_mov_b64 exec, s[20:21]                                   // 0000000070C4: BEFE0114
	global_atomic_add_f32 v6, v50, s[8:9] offset:8             // 0000000070C8: DD348008 00083206
	global_atomic_add_f32 v6, v54, s[8:9] offset:264           // 0000000070D0: DD348108 00083606
	s_mov_b64 exec, s[36:37]                                   // 0000000070D8: BEFE0124
	v_mov_b32_e32 v6, v41                                      // 0000000070DC: 7E0C0329
	s_mov_b64 s[60:61], 0                                      // 0000000070E0: BEBC0180
	v_readlane_b32 s82, v3, 2                                  // 0000000070E4: D2890052 00010503
	s_and_b32 s82, s82, 0xffffff                               // 0000000070EC: 8652FF52 00FFFFFF
	s_cmp_lt_u32 s82, s66                                      // 0000000070F4: BF0A4252
	s_cselect_b32 s20, s36, s60                                // 0000000070F8: 85143C24
	v_readlane_b32 s82, v3, 3                                  // 0000000070FC: D2890052 00010703
	s_and_b32 s82, s82, 0xffffff                               // 000000007104: 8652FF52 00FFFFFF
	s_cmp_lt_u32 s82, s66                                      // 00000000710C: BF0A4252
	s_cselect_b32 s21, s36, s60                                // 000000007110: 85153C24
	s_mov_b64 exec, s[20:21]                                   // 000000007114: BEFE0114
	global_atomic_add_f32 v6, v51, s[8:9] offset:8             // 000000007118: DD348008 00083306
	global_atomic_add_f32 v6, v55, s[8:9] offset:264           // 000000007120: DD348108 00083706
	s_mov_b64 exec, s[36:37]                                   // 000000007128: BEFE0124
	v_mov_b32_e32 v6, v42                                      // 00000000712C: 7E0C032A
	s_mov_b64 s[60:61], 0                                      // 000000007130: BEBC0180
	v_readlane_b32 s82, v3, 4                                  // 000000007134: D2890052 00010903
	s_and_b32 s82, s82, 0xffffff                               // 00000000713C: 8652FF52 00FFFFFF
	s_cmp_lt_u32 s82, s66                                      // 000000007144: BF0A4252
	s_cselect_b32 s20, s36, s60                                // 000000007148: 85143C24
	v_readlane_b32 s82, v3, 5                                  // 00000000714C: D2890052 00010B03
	s_and_b32 s82, s82, 0xffffff                               // 000000007154: 8652FF52 00FFFFFF
	s_cmp_lt_u32 s82, s66                                      // 00000000715C: BF0A4252
	s_cselect_b32 s21, s36, s60                                // 000000007160: 85153C24
	s_mov_b64 exec, s[20:21]                                   // 000000007164: BEFE0114
	global_atomic_add_f32 v6, v58, s[8:9] offset:8             // 000000007168: DD348008 00083A06
	global_atomic_add_f32 v6, v62, s[8:9] offset:264           // 000000007170: DD348108 00083E06
	s_mov_b64 exec, s[36:37]                                   // 000000007178: BEFE0124
	v_mov_b32_e32 v6, v43                                      // 00000000717C: 7E0C032B
	s_mov_b64 s[60:61], 0                                      // 000000007180: BEBC0180
	v_readlane_b32 s82, v3, 6                                  // 000000007184: D2890052 00010D03
	s_and_b32 s82, s82, 0xffffff                               // 00000000718C: 8652FF52 00FFFFFF
	s_cmp_lt_u32 s82, s66                                      // 000000007194: BF0A4252
	s_cselect_b32 s20, s36, s60                                // 000000007198: 85143C24
	v_readlane_b32 s82, v3, 7                                  // 00000000719C: D2890052 00010F03
	s_and_b32 s82, s82, 0xffffff                               // 0000000071A4: 8652FF52 00FFFFFF
	s_cmp_lt_u32 s82, s66                                      // 0000000071AC: BF0A4252
	s_cselect_b32 s21, s36, s60                                // 0000000071B0: 85153C24
	s_mov_b64 exec, s[20:21]                                   // 0000000071B4: BEFE0114
	global_atomic_add_f32 v6, v59, s[8:9] offset:8             // 0000000071B8: DD348008 00083B06
	global_atomic_add_f32 v6, v63, s[8:9] offset:264           // 0000000071C0: DD348108 00083F06
	s_mov_b64 exec, s[36:37]                                   // 0000000071C8: BEFE0124
	v_mov_b32_e32 v6, v44                                      // 0000000071CC: 7E0C032C
	s_mov_b64 s[60:61], 0                                      // 0000000071D0: BEBC0180
	v_readlane_b32 s82, v3, 8                                  // 0000000071D4: D2890052 00011103
	s_and_b32 s82, s82, 0xffffff                               // 0000000071DC: 8652FF52 00FFFFFF
	s_cmp_lt_u32 s82, s66                                      // 0000000071E4: BF0A4252
	s_cselect_b32 s20, s36, s60                                // 0000000071E8: 85143C24
	v_readlane_b32 s82, v3, 9                                  // 0000000071EC: D2890052 00011303
	s_and_b32 s82, s82, 0xffffff                               // 0000000071F4: 8652FF52 00FFFFFF
	s_cmp_lt_u32 s82, s66                                      // 0000000071FC: BF0A4252
	s_cselect_b32 s21, s36, s60                                // 000000007200: 85153C24
	s_mov_b64 exec, s[20:21]                                   // 000000007204: BEFE0114
	global_atomic_add_f32 v6, v66, s[8:9] offset:8             // 000000007208: DD348008 00084206
	global_atomic_add_f32 v6, v70, s[8:9] offset:264           // 000000007210: DD348108 00084606
	s_mov_b64 exec, s[36:37]                                   // 000000007218: BEFE0124
	v_mov_b32_e32 v6, v45                                      // 00000000721C: 7E0C032D
	s_mov_b64 s[60:61], 0                                      // 000000007220: BEBC0180
	v_readlane_b32 s82, v3, 10                                 // 000000007224: D2890052 00011503
	s_and_b32 s82, s82, 0xffffff                               // 00000000722C: 8652FF52 00FFFFFF
	s_cmp_lt_u32 s82, s66                                      // 000000007234: BF0A4252
	s_cselect_b32 s20, s36, s60                                // 000000007238: 85143C24
	v_readlane_b32 s82, v3, 11                                 // 00000000723C: D2890052 00011703
	s_and_b32 s82, s82, 0xffffff                               // 000000007244: 8652FF52 00FFFFFF
	s_cmp_lt_u32 s82, s66                                      // 00000000724C: BF0A4252
	s_cselect_b32 s21, s36, s60                                // 000000007250: 85153C24
	s_mov_b64 exec, s[20:21]                                   // 000000007254: BEFE0114
	global_atomic_add_f32 v6, v67, s[8:9] offset:8             // 000000007258: DD348008 00084306
	global_atomic_add_f32 v6, v71, s[8:9] offset:264           // 000000007260: DD348108 00084706
	s_mov_b64 exec, s[36:37]                                   // 000000007268: BEFE0124
	ds_write_b64 v20, v[72:73]                                 // 00000000726C: D89A0000 00004814
	ds_write_b64 v20, v[76:77] offset:4352                     // 000000007274: D89A1100 00004C14
	ds_write_b64 v20, v[80:81] offset:8704                     // 00000000727C: D89A2200 00005014
	ds_write_b64 v20, v[84:85] offset:2176                     // 000000007284: D89A0880 00005414
	ds_write_b64 v20, v[88:89] offset:6528                     // 00000000728C: D89A1980 00005814
	ds_write_b64 v20, v[92:93] offset:10880                    // 000000007294: D89A2A80 00005C14
	s_waitcnt lgkmcnt(0)                                       // 00000000729C: BF8CC07F
	s_barrier                                                  // 0000000072A0: BF8A0000
	ds_read_b32 v72, v21                                       // 0000000072A4: D86C0000 48000015
	ds_read_b32 v73, v21 offset:64                             // 0000000072AC: D86C0040 49000015
	ds_read_b32 v76, v21 offset:2176                           // 0000000072B4: D86C0880 4C000015
	ds_read_b32 v77, v21 offset:2240                           // 0000000072BC: D86C08C0 4D000015
	ds_read_b32 v80, v21 offset:4352                           // 0000000072C4: D86C1100 50000015
	ds_read_b32 v81, v21 offset:4416                           // 0000000072CC: D86C1140 51000015
	ds_read_b32 v84, v21 offset:6528                           // 0000000072D4: D86C1980 54000015
	ds_read_b32 v85, v21 offset:6592                           // 0000000072DC: D86C19C0 55000015
	ds_read_b32 v88, v21 offset:8704                           // 0000000072E4: D86C2200 58000015
	ds_read_b32 v89, v21 offset:8768                           // 0000000072EC: D86C2240 59000015
	ds_read_b32 v92, v21 offset:10880                          // 0000000072F4: D86C2A80 5C000015
	ds_read_b32 v93, v21 offset:10944                          // 0000000072FC: D86C2AC0 5D000015
	s_mul_i32 s60, s65, 4                                      // 000000007304: 923C8441
	s_add_u32 s8, s60, s8                                      // 000000007308: 8008083C
	s_addc_u32 s9, 0, s9                                       // 00000000730C: 82090980
	s_waitcnt lgkmcnt(0)                                       // 000000007310: BF8CC07F
	v_mov_b32_e32 v7, 0                                        // 000000007314: 7E0E0280
	s_mov_b64 exec, s[36:37]                                   // 000000007318: BEFE0124
	v_mov_b32_e32 v6, v40                                      // 00000000731C: 7E0C0328
	s_mov_b64 s[60:61], 0                                      // 000000007320: BEBC0180
	v_readlane_b32 s82, v3, 0                                  // 000000007324: D2890052 00010103
	s_and_b32 s82, s82, 0xffffff                               // 00000000732C: 8652FF52 00FFFFFF
	s_cmp_lt_u32 s82, s66                                      // 000000007334: BF0A4252
	s_cselect_b32 s20, s36, s60                                // 000000007338: 85143C24
	v_readlane_b32 s82, v3, 1                                  // 00000000733C: D2890052 00010303
	s_and_b32 s82, s82, 0xffffff                               // 000000007344: 8652FF52 00FFFFFF
	s_cmp_lt_u32 s82, s66                                      // 00000000734C: BF0A4252
	s_cselect_b32 s21, s36, s60                                // 000000007350: 85153C24
	s_mov_b64 exec, s[20:21]                                   // 000000007354: BEFE0114
	global_atomic_add_f32 v6, v72, s[8:9]                      // 000000007358: DD348000 00084806
	global_atomic_add_f32 v6, v76, s[8:9] offset:256           // 000000007360: DD348100 00084C06
	s_mov_b64 exec, s[36:37]                                   // 000000007368: BEFE0124
	v_mov_b32_e32 v6, v41                                      // 00000000736C: 7E0C0329
	s_mov_b64 s[60:61], 0                                      // 000000007370: BEBC0180
	v_readlane_b32 s82, v3, 2                                  // 000000007374: D2890052 00010503
	s_and_b32 s82, s82, 0xffffff                               // 00000000737C: 8652FF52 00FFFFFF
	s_cmp_lt_u32 s82, s66                                      // 000000007384: BF0A4252
	s_cselect_b32 s20, s36, s60                                // 000000007388: 85143C24
	v_readlane_b32 s82, v3, 3                                  // 00000000738C: D2890052 00010703
	s_and_b32 s82, s82, 0xffffff                               // 000000007394: 8652FF52 00FFFFFF
	s_cmp_lt_u32 s82, s66                                      // 00000000739C: BF0A4252
	s_cselect_b32 s21, s36, s60                                // 0000000073A0: 85153C24
	s_mov_b64 exec, s[20:21]                                   // 0000000073A4: BEFE0114
	global_atomic_add_f32 v6, v73, s[8:9]                      // 0000000073A8: DD348000 00084906
	global_atomic_add_f32 v6, v77, s[8:9] offset:256           // 0000000073B0: DD348100 00084D06
	s_mov_b64 exec, s[36:37]                                   // 0000000073B8: BEFE0124
	v_mov_b32_e32 v6, v42                                      // 0000000073BC: 7E0C032A
	s_mov_b64 s[60:61], 0                                      // 0000000073C0: BEBC0180
	v_readlane_b32 s82, v3, 4                                  // 0000000073C4: D2890052 00010903
	s_and_b32 s82, s82, 0xffffff                               // 0000000073CC: 8652FF52 00FFFFFF
	s_cmp_lt_u32 s82, s66                                      // 0000000073D4: BF0A4252
	s_cselect_b32 s20, s36, s60                                // 0000000073D8: 85143C24
	v_readlane_b32 s82, v3, 5                                  // 0000000073DC: D2890052 00010B03
	s_and_b32 s82, s82, 0xffffff                               // 0000000073E4: 8652FF52 00FFFFFF
	s_cmp_lt_u32 s82, s66                                      // 0000000073EC: BF0A4252
	s_cselect_b32 s21, s36, s60                                // 0000000073F0: 85153C24
	s_mov_b64 exec, s[20:21]                                   // 0000000073F4: BEFE0114
	global_atomic_add_f32 v6, v80, s[8:9]                      // 0000000073F8: DD348000 00085006
	global_atomic_add_f32 v6, v84, s[8:9] offset:256           // 000000007400: DD348100 00085406
	s_mov_b64 exec, s[36:37]                                   // 000000007408: BEFE0124
	v_mov_b32_e32 v6, v43                                      // 00000000740C: 7E0C032B
	s_mov_b64 s[60:61], 0                                      // 000000007410: BEBC0180
	v_readlane_b32 s82, v3, 6                                  // 000000007414: D2890052 00010D03
	s_and_b32 s82, s82, 0xffffff                               // 00000000741C: 8652FF52 00FFFFFF
	s_cmp_lt_u32 s82, s66                                      // 000000007424: BF0A4252
	s_cselect_b32 s20, s36, s60                                // 000000007428: 85143C24
	v_readlane_b32 s82, v3, 7                                  // 00000000742C: D2890052 00010F03
	s_and_b32 s82, s82, 0xffffff                               // 000000007434: 8652FF52 00FFFFFF
	s_cmp_lt_u32 s82, s66                                      // 00000000743C: BF0A4252
	s_cselect_b32 s21, s36, s60                                // 000000007440: 85153C24
	s_mov_b64 exec, s[20:21]                                   // 000000007444: BEFE0114
	global_atomic_add_f32 v6, v81, s[8:9]                      // 000000007448: DD348000 00085106
	global_atomic_add_f32 v6, v85, s[8:9] offset:256           // 000000007450: DD348100 00085506
	s_mov_b64 exec, s[36:37]                                   // 000000007458: BEFE0124
	v_mov_b32_e32 v6, v44                                      // 00000000745C: 7E0C032C
	s_mov_b64 s[60:61], 0                                      // 000000007460: BEBC0180
	v_readlane_b32 s82, v3, 8                                  // 000000007464: D2890052 00011103
	s_and_b32 s82, s82, 0xffffff                               // 00000000746C: 8652FF52 00FFFFFF
	s_cmp_lt_u32 s82, s66                                      // 000000007474: BF0A4252
	s_cselect_b32 s20, s36, s60                                // 000000007478: 85143C24
	v_readlane_b32 s82, v3, 9                                  // 00000000747C: D2890052 00011303
	s_and_b32 s82, s82, 0xffffff                               // 000000007484: 8652FF52 00FFFFFF
	s_cmp_lt_u32 s82, s66                                      // 00000000748C: BF0A4252
	s_cselect_b32 s21, s36, s60                                // 000000007490: 85153C24
	s_mov_b64 exec, s[20:21]                                   // 000000007494: BEFE0114
	global_atomic_add_f32 v6, v88, s[8:9]                      // 000000007498: DD348000 00085806
	global_atomic_add_f32 v6, v92, s[8:9] offset:256           // 0000000074A0: DD348100 00085C06
	s_mov_b64 exec, s[36:37]                                   // 0000000074A8: BEFE0124
	v_mov_b32_e32 v6, v45                                      // 0000000074AC: 7E0C032D
	s_mov_b64 s[60:61], 0                                      // 0000000074B0: BEBC0180
	v_readlane_b32 s82, v3, 10                                 // 0000000074B4: D2890052 00011503
	s_and_b32 s82, s82, 0xffffff                               // 0000000074BC: 8652FF52 00FFFFFF
	s_cmp_lt_u32 s82, s66                                      // 0000000074C4: BF0A4252
	s_cselect_b32 s20, s36, s60                                // 0000000074C8: 85143C24
	v_readlane_b32 s82, v3, 11                                 // 0000000074CC: D2890052 00011703
	s_and_b32 s82, s82, 0xffffff                               // 0000000074D4: 8652FF52 00FFFFFF
	s_cmp_lt_u32 s82, s66                                      // 0000000074DC: BF0A4252
	s_cselect_b32 s21, s36, s60                                // 0000000074E0: 85153C24
	s_mov_b64 exec, s[20:21]                                   // 0000000074E4: BEFE0114
	global_atomic_add_f32 v6, v89, s[8:9]                      // 0000000074E8: DD348000 00085906
	global_atomic_add_f32 v6, v93, s[8:9] offset:256           // 0000000074F0: DD348100 00085D06
	s_mov_b64 exec, s[36:37]                                   // 0000000074F8: BEFE0124
	ds_write_b64 v20, v[74:75]                                 // 0000000074FC: D89A0000 00004A14
	ds_write_b64 v20, v[78:79] offset:4352                     // 000000007504: D89A1100 00004E14
	ds_write_b64 v20, v[82:83] offset:8704                     // 00000000750C: D89A2200 00005214
	ds_write_b64 v20, v[86:87] offset:2176                     // 000000007514: D89A0880 00005614
	ds_write_b64 v20, v[90:91] offset:6528                     // 00000000751C: D89A1980 00005A14
	ds_write_b64 v20, v[94:95] offset:10880                    // 000000007524: D89A2A80 00005E14
	s_waitcnt lgkmcnt(0)                                       // 00000000752C: BF8CC07F
	s_barrier                                                  // 000000007530: BF8A0000
	ds_read_b32 v74, v21                                       // 000000007534: D86C0000 4A000015
	ds_read_b32 v75, v21 offset:64                             // 00000000753C: D86C0040 4B000015
	ds_read_b32 v78, v21 offset:2176                           // 000000007544: D86C0880 4E000015
	ds_read_b32 v79, v21 offset:2240                           // 00000000754C: D86C08C0 4F000015
	ds_read_b32 v82, v21 offset:4352                           // 000000007554: D86C1100 52000015
	ds_read_b32 v83, v21 offset:4416                           // 00000000755C: D86C1140 53000015
	ds_read_b32 v86, v21 offset:6528                           // 000000007564: D86C1980 56000015
	ds_read_b32 v87, v21 offset:6592                           // 00000000756C: D86C19C0 57000015
	ds_read_b32 v90, v21 offset:8704                           // 000000007574: D86C2200 5A000015
	ds_read_b32 v91, v21 offset:8768                           // 00000000757C: D86C2240 5B000015
	ds_read_b32 v94, v21 offset:10880                          // 000000007584: D86C2A80 5E000015
	ds_read_b32 v95, v21 offset:10944                          // 00000000758C: D86C2AC0 5F000015
	s_waitcnt lgkmcnt(0)                                       // 000000007594: BF8CC07F
	v_mov_b32_e32 v7, 0                                        // 000000007598: 7E0E0280
	s_mov_b64 exec, s[36:37]                                   // 00000000759C: BEFE0124
	v_mov_b32_e32 v6, v40                                      // 0000000075A0: 7E0C0328
	s_mov_b64 s[60:61], 0                                      // 0000000075A4: BEBC0180
	v_readlane_b32 s82, v3, 0                                  // 0000000075A8: D2890052 00010103
	s_and_b32 s82, s82, 0xffffff                               // 0000000075B0: 8652FF52 00FFFFFF
	s_cmp_lt_u32 s82, s66                                      // 0000000075B8: BF0A4252
	s_cselect_b32 s20, s36, s60                                // 0000000075BC: 85143C24
	v_readlane_b32 s82, v3, 1                                  // 0000000075C0: D2890052 00010303
	s_and_b32 s82, s82, 0xffffff                               // 0000000075C8: 8652FF52 00FFFFFF
	s_cmp_lt_u32 s82, s66                                      // 0000000075D0: BF0A4252
	s_cselect_b32 s21, s36, s60                                // 0000000075D4: 85153C24
	s_mov_b64 exec, s[20:21]                                   // 0000000075D8: BEFE0114
	global_atomic_add_f32 v6, v74, s[8:9] offset:8             // 0000000075DC: DD348008 00084A06
	global_atomic_add_f32 v6, v78, s[8:9] offset:264           // 0000000075E4: DD348108 00084E06
	s_mov_b64 exec, s[36:37]                                   // 0000000075EC: BEFE0124
	v_mov_b32_e32 v6, v41                                      // 0000000075F0: 7E0C0329
	s_mov_b64 s[60:61], 0                                      // 0000000075F4: BEBC0180
	v_readlane_b32 s82, v3, 2                                  // 0000000075F8: D2890052 00010503
	s_and_b32 s82, s82, 0xffffff                               // 000000007600: 8652FF52 00FFFFFF
	s_cmp_lt_u32 s82, s66                                      // 000000007608: BF0A4252
	s_cselect_b32 s20, s36, s60                                // 00000000760C: 85143C24
	v_readlane_b32 s82, v3, 3                                  // 000000007610: D2890052 00010703
	s_and_b32 s82, s82, 0xffffff                               // 000000007618: 8652FF52 00FFFFFF
	s_cmp_lt_u32 s82, s66                                      // 000000007620: BF0A4252
	s_cselect_b32 s21, s36, s60                                // 000000007624: 85153C24
	s_mov_b64 exec, s[20:21]                                   // 000000007628: BEFE0114
	global_atomic_add_f32 v6, v75, s[8:9] offset:8             // 00000000762C: DD348008 00084B06
	global_atomic_add_f32 v6, v79, s[8:9] offset:264           // 000000007634: DD348108 00084F06
	s_mov_b64 exec, s[36:37]                                   // 00000000763C: BEFE0124
	v_mov_b32_e32 v6, v42                                      // 000000007640: 7E0C032A
	s_mov_b64 s[60:61], 0                                      // 000000007644: BEBC0180
	v_readlane_b32 s82, v3, 4                                  // 000000007648: D2890052 00010903
	s_and_b32 s82, s82, 0xffffff                               // 000000007650: 8652FF52 00FFFFFF
	s_cmp_lt_u32 s82, s66                                      // 000000007658: BF0A4252
	s_cselect_b32 s20, s36, s60                                // 00000000765C: 85143C24
	v_readlane_b32 s82, v3, 5                                  // 000000007660: D2890052 00010B03
	s_and_b32 s82, s82, 0xffffff                               // 000000007668: 8652FF52 00FFFFFF
	s_cmp_lt_u32 s82, s66                                      // 000000007670: BF0A4252
	s_cselect_b32 s21, s36, s60                                // 000000007674: 85153C24
	s_mov_b64 exec, s[20:21]                                   // 000000007678: BEFE0114
	global_atomic_add_f32 v6, v82, s[8:9] offset:8             // 00000000767C: DD348008 00085206
	global_atomic_add_f32 v6, v86, s[8:9] offset:264           // 000000007684: DD348108 00085606
	s_mov_b64 exec, s[36:37]                                   // 00000000768C: BEFE0124
	v_mov_b32_e32 v6, v43                                      // 000000007690: 7E0C032B
	s_mov_b64 s[60:61], 0                                      // 000000007694: BEBC0180
	v_readlane_b32 s82, v3, 6                                  // 000000007698: D2890052 00010D03
	s_and_b32 s82, s82, 0xffffff                               // 0000000076A0: 8652FF52 00FFFFFF
	s_cmp_lt_u32 s82, s66                                      // 0000000076A8: BF0A4252
	s_cselect_b32 s20, s36, s60                                // 0000000076AC: 85143C24
	v_readlane_b32 s82, v3, 7                                  // 0000000076B0: D2890052 00010F03
	s_and_b32 s82, s82, 0xffffff                               // 0000000076B8: 8652FF52 00FFFFFF
	s_cmp_lt_u32 s82, s66                                      // 0000000076C0: BF0A4252
	s_cselect_b32 s21, s36, s60                                // 0000000076C4: 85153C24
	s_mov_b64 exec, s[20:21]                                   // 0000000076C8: BEFE0114
	global_atomic_add_f32 v6, v83, s[8:9] offset:8             // 0000000076CC: DD348008 00085306
	global_atomic_add_f32 v6, v87, s[8:9] offset:264           // 0000000076D4: DD348108 00085706
	s_mov_b64 exec, s[36:37]                                   // 0000000076DC: BEFE0124
	v_mov_b32_e32 v6, v44                                      // 0000000076E0: 7E0C032C
	s_mov_b64 s[60:61], 0                                      // 0000000076E4: BEBC0180
	v_readlane_b32 s82, v3, 8                                  // 0000000076E8: D2890052 00011103
	s_and_b32 s82, s82, 0xffffff                               // 0000000076F0: 8652FF52 00FFFFFF
	s_cmp_lt_u32 s82, s66                                      // 0000000076F8: BF0A4252
	s_cselect_b32 s20, s36, s60                                // 0000000076FC: 85143C24
	v_readlane_b32 s82, v3, 9                                  // 000000007700: D2890052 00011303
	s_and_b32 s82, s82, 0xffffff                               // 000000007708: 8652FF52 00FFFFFF
	s_cmp_lt_u32 s82, s66                                      // 000000007710: BF0A4252
	s_cselect_b32 s21, s36, s60                                // 000000007714: 85153C24
	s_mov_b64 exec, s[20:21]                                   // 000000007718: BEFE0114
	global_atomic_add_f32 v6, v90, s[8:9] offset:8             // 00000000771C: DD348008 00085A06
	global_atomic_add_f32 v6, v94, s[8:9] offset:264           // 000000007724: DD348108 00085E06
	s_mov_b64 exec, s[36:37]                                   // 00000000772C: BEFE0124
	v_mov_b32_e32 v6, v45                                      // 000000007730: 7E0C032D
	s_mov_b64 s[60:61], 0                                      // 000000007734: BEBC0180
	v_readlane_b32 s82, v3, 10                                 // 000000007738: D2890052 00011503
	s_and_b32 s82, s82, 0xffffff                               // 000000007740: 8652FF52 00FFFFFF
	s_cmp_lt_u32 s82, s66                                      // 000000007748: BF0A4252
	s_cselect_b32 s20, s36, s60                                // 00000000774C: 85143C24
	v_readlane_b32 s82, v3, 11                                 // 000000007750: D2890052 00011703
	s_and_b32 s82, s82, 0xffffff                               // 000000007758: 8652FF52 00FFFFFF
	s_cmp_lt_u32 s82, s66                                      // 000000007760: BF0A4252
	s_cselect_b32 s21, s36, s60                                // 000000007764: 85153C24
	s_mov_b64 exec, s[20:21]                                   // 000000007768: BEFE0114
	global_atomic_add_f32 v6, v91, s[8:9] offset:8             // 00000000776C: DD348008 00085B06
	global_atomic_add_f32 v6, v95, s[8:9] offset:264           // 000000007774: DD348108 00085F06
	s_mov_b64 exec, s[36:37]                                   // 00000000777C: BEFE0124
	s_branch label_1364                                        // 000000007780: BF820000

0000000000007784 <label_1364>:
	s_waitcnt vmcnt(0) expcnt(0) lgkmcnt(0)                    // 000000007784: BF8C0000
	s_endpgm                                                   // 000000007788: BF810000
